;; amdgpu-corpus repo=ROCm/hip-tests kind=compiled arch=gfx906 opt=O3
	.amdgcn_target "amdgcn-amd-amdhsa--gfx906"
	.amdhsa_code_object_version 6
	.section	.text._ZL32kernel_cg_group_partition_staticILj2EEvPi19TiledGroupShflTests,"axG",@progbits,_ZL32kernel_cg_group_partition_staticILj2EEvPi19TiledGroupShflTests,comdat
	.globl	_ZL32kernel_cg_group_partition_staticILj2EEvPi19TiledGroupShflTests ; -- Begin function _ZL32kernel_cg_group_partition_staticILj2EEvPi19TiledGroupShflTests
	.p2align	8
	.type	_ZL32kernel_cg_group_partition_staticILj2EEvPi19TiledGroupShflTests,@function
_ZL32kernel_cg_group_partition_staticILj2EEvPi19TiledGroupShflTests: ; @_ZL32kernel_cg_group_partition_staticILj2EEvPi19TiledGroupShflTests
; %bb.0:
	s_add_u32 flat_scratch_lo, s6, s9
	s_load_dword s6, s[4:5], 0x1c
	s_addc_u32 flat_scratch_hi, s7, 0
	s_add_u32 s0, s0, s9
	s_addc_u32 s1, s1, 0
	s_add_u32 s8, s4, 16
	s_addc_u32 s9, s5, 0
	s_waitcnt lgkmcnt(0)
	s_lshr_b32 s28, s6, 16
	s_and_b32 s29, s6, 0xffff
	v_mad_u32_u24 v1, v2, s28, v1
	v_mad_u64_u32 v[29:30], s[6:7], v1, s29, v[0:1]
	v_cmp_eq_u32_e32 vcc, 0, v29
	s_and_saveexec_b64 s[10:11], vcc
	s_cbranch_execz .LBB0_189
; %bb.1:
	s_load_dword s30, s[8:9], 0x10
	s_load_dwordx2 s[12:13], s[8:9], 0x50
	v_mbcnt_lo_u32_b32 v0, -1, 0
	v_mbcnt_hi_u32_b32 v31, -1, v0
	v_readfirstlane_b32 s6, v31
	v_mov_b32_e32 v5, 0
	v_mov_b32_e32 v6, 0
	v_cmp_eq_u32_e64 s[6:7], s6, v31
	s_and_saveexec_b64 s[14:15], s[6:7]
	s_cbranch_execz .LBB0_7
; %bb.2:
	v_mov_b32_e32 v0, 0
	s_waitcnt lgkmcnt(0)
	global_load_dwordx2 v[3:4], v0, s[12:13] offset:24 glc
	s_waitcnt vmcnt(0)
	buffer_wbinvl1_vol
	global_load_dwordx2 v[1:2], v0, s[12:13] offset:40
	global_load_dwordx2 v[5:6], v0, s[12:13]
	s_waitcnt vmcnt(1)
	v_and_b32_e32 v1, v1, v3
	v_and_b32_e32 v2, v2, v4
	v_mul_lo_u32 v2, v2, 24
	v_mul_hi_u32 v7, v1, 24
	v_mul_lo_u32 v1, v1, 24
	v_add_u32_e32 v2, v7, v2
	s_waitcnt vmcnt(0)
	v_add_co_u32_e32 v1, vcc, v5, v1
	v_addc_co_u32_e32 v2, vcc, v6, v2, vcc
	global_load_dwordx2 v[1:2], v[1:2], off glc
	s_waitcnt vmcnt(0)
	global_atomic_cmpswap_x2 v[5:6], v0, v[1:4], s[12:13] offset:24 glc
	s_waitcnt vmcnt(0)
	buffer_wbinvl1_vol
	v_cmp_ne_u64_e32 vcc, v[5:6], v[3:4]
	s_and_saveexec_b64 s[16:17], vcc
	s_cbranch_execz .LBB0_6
; %bb.3:
	s_mov_b64 s[18:19], 0
.LBB0_4:                                ; =>This Inner Loop Header: Depth=1
	s_sleep 1
	global_load_dwordx2 v[1:2], v0, s[12:13] offset:40
	global_load_dwordx2 v[7:8], v0, s[12:13]
	v_mov_b32_e32 v3, v5
	v_mov_b32_e32 v4, v6
	s_waitcnt vmcnt(1)
	v_and_b32_e32 v1, v1, v3
	s_waitcnt vmcnt(0)
	v_mad_u64_u32 v[5:6], s[20:21], v1, 24, v[7:8]
	v_and_b32_e32 v2, v2, v4
	v_mov_b32_e32 v1, v6
	v_mad_u64_u32 v[1:2], s[20:21], v2, 24, v[1:2]
	v_mov_b32_e32 v6, v1
	global_load_dwordx2 v[1:2], v[5:6], off glc
	s_waitcnt vmcnt(0)
	global_atomic_cmpswap_x2 v[5:6], v0, v[1:4], s[12:13] offset:24 glc
	s_waitcnt vmcnt(0)
	buffer_wbinvl1_vol
	v_cmp_eq_u64_e32 vcc, v[5:6], v[3:4]
	s_or_b64 s[18:19], vcc, s[18:19]
	s_andn2_b64 exec, exec, s[18:19]
	s_cbranch_execnz .LBB0_4
; %bb.5:
	s_or_b64 exec, exec, s[18:19]
.LBB0_6:
	s_or_b64 exec, exec, s[16:17]
.LBB0_7:
	s_or_b64 exec, exec, s[14:15]
	v_mov_b32_e32 v4, 0
	s_waitcnt lgkmcnt(0)
	global_load_dwordx2 v[7:8], v4, s[12:13] offset:40
	global_load_dwordx4 v[0:3], v4, s[12:13]
	v_readfirstlane_b32 s15, v6
	v_readfirstlane_b32 s14, v5
	s_mov_b64 s[16:17], exec
	s_waitcnt vmcnt(1)
	v_readfirstlane_b32 s18, v7
	v_readfirstlane_b32 s19, v8
	s_and_b64 s[18:19], s[18:19], s[14:15]
	s_mul_i32 s20, s19, 24
	s_mul_hi_u32 s21, s18, 24
	s_mul_i32 s22, s18, 24
	s_add_i32 s20, s21, s20
	v_mov_b32_e32 v5, s20
	s_waitcnt vmcnt(0)
	v_add_co_u32_e32 v7, vcc, s22, v0
	v_addc_co_u32_e32 v8, vcc, v1, v5, vcc
	s_and_saveexec_b64 s[20:21], s[6:7]
	s_cbranch_execz .LBB0_9
; %bb.8:
	v_mov_b32_e32 v9, s16
	v_mov_b32_e32 v10, s17
	;; [unrolled: 1-line block ×4, first 2 shown]
	global_store_dwordx4 v[7:8], v[9:12], off offset:8
.LBB0_9:
	s_or_b64 exec, exec, s[20:21]
	s_lshl_b64 s[16:17], s[18:19], 12
	v_mov_b32_e32 v5, s17
	v_add_co_u32_e32 v2, vcc, s16, v2
	v_addc_co_u32_e32 v11, vcc, v3, v5, vcc
	v_lshlrev_b32_e32 v30, 6, v31
	s_mov_b32 s16, 0
	v_mov_b32_e32 v3, 33
	v_mov_b32_e32 v5, v4
	;; [unrolled: 1-line block ×3, first 2 shown]
	v_readfirstlane_b32 s20, v2
	v_readfirstlane_b32 s21, v11
	v_add_co_u32_e32 v9, vcc, v2, v30
	s_mov_b32 s17, s16
	s_mov_b32 s18, s16
	;; [unrolled: 1-line block ×3, first 2 shown]
	s_nop 0
	global_store_dwordx4 v30, v[3:6], s[20:21]
	v_mov_b32_e32 v2, s16
	v_addc_co_u32_e32 v10, vcc, 0, v11, vcc
	v_mov_b32_e32 v3, s17
	v_mov_b32_e32 v4, s18
	;; [unrolled: 1-line block ×3, first 2 shown]
	global_store_dwordx4 v30, v[2:5], s[20:21] offset:16
	global_store_dwordx4 v30, v[2:5], s[20:21] offset:32
	global_store_dwordx4 v30, v[2:5], s[20:21] offset:48
	s_and_saveexec_b64 s[16:17], s[6:7]
	s_cbranch_execz .LBB0_17
; %bb.10:
	v_mov_b32_e32 v6, 0
	global_load_dwordx2 v[13:14], v6, s[12:13] offset:32 glc
	global_load_dwordx2 v[2:3], v6, s[12:13] offset:40
	v_mov_b32_e32 v11, s14
	v_mov_b32_e32 v12, s15
	s_waitcnt vmcnt(0)
	v_and_b32_e32 v2, s14, v2
	v_and_b32_e32 v3, s15, v3
	v_mul_lo_u32 v3, v3, 24
	v_mul_hi_u32 v4, v2, 24
	v_mul_lo_u32 v2, v2, 24
	v_add_u32_e32 v3, v4, v3
	v_add_co_u32_e32 v4, vcc, v0, v2
	v_addc_co_u32_e32 v5, vcc, v1, v3, vcc
	global_store_dwordx2 v[4:5], v[13:14], off
	s_waitcnt vmcnt(0)
	global_atomic_cmpswap_x2 v[2:3], v6, v[11:14], s[12:13] offset:32 glc
	s_waitcnt vmcnt(0)
	v_cmp_ne_u64_e32 vcc, v[2:3], v[13:14]
	s_and_saveexec_b64 s[18:19], vcc
	s_cbranch_execz .LBB0_13
; %bb.11:
	s_mov_b64 s[20:21], 0
.LBB0_12:                               ; =>This Inner Loop Header: Depth=1
	s_sleep 1
	global_store_dwordx2 v[4:5], v[2:3], off
	v_mov_b32_e32 v0, s14
	v_mov_b32_e32 v1, s15
	s_waitcnt vmcnt(0)
	global_atomic_cmpswap_x2 v[0:1], v6, v[0:3], s[12:13] offset:32 glc
	s_waitcnt vmcnt(0)
	v_cmp_eq_u64_e32 vcc, v[0:1], v[2:3]
	v_mov_b32_e32 v3, v1
	s_or_b64 s[20:21], vcc, s[20:21]
	v_mov_b32_e32 v2, v0
	s_andn2_b64 exec, exec, s[20:21]
	s_cbranch_execnz .LBB0_12
.LBB0_13:
	s_or_b64 exec, exec, s[18:19]
	v_mov_b32_e32 v3, 0
	global_load_dwordx2 v[0:1], v3, s[12:13] offset:16
	s_mov_b64 s[18:19], exec
	v_mbcnt_lo_u32_b32 v2, s18, 0
	v_mbcnt_hi_u32_b32 v2, s19, v2
	v_cmp_eq_u32_e32 vcc, 0, v2
	s_and_saveexec_b64 s[20:21], vcc
	s_cbranch_execz .LBB0_15
; %bb.14:
	s_bcnt1_i32_b64 s18, s[18:19]
	v_mov_b32_e32 v2, s18
	s_waitcnt vmcnt(0)
	global_atomic_add_x2 v[0:1], v[2:3], off offset:8
.LBB0_15:
	s_or_b64 exec, exec, s[20:21]
	s_waitcnt vmcnt(0)
	global_load_dwordx2 v[2:3], v[0:1], off offset:16
	s_waitcnt vmcnt(0)
	v_cmp_eq_u64_e32 vcc, 0, v[2:3]
	s_cbranch_vccnz .LBB0_17
; %bb.16:
	global_load_dword v0, v[0:1], off offset:24
	v_mov_b32_e32 v1, 0
	s_waitcnt vmcnt(0)
	v_readfirstlane_b32 s18, v0
	s_and_b32 m0, s18, 0xffffff
	global_store_dwordx2 v[2:3], v[0:1], off
	s_sendmsg sendmsg(MSG_INTERRUPT)
.LBB0_17:
	s_or_b64 exec, exec, s[16:17]
	s_branch .LBB0_21
.LBB0_18:                               ;   in Loop: Header=BB0_21 Depth=1
	s_or_b64 exec, exec, s[16:17]
	v_readfirstlane_b32 s16, v0
	s_cmp_eq_u32 s16, 0
	s_cbranch_scc1 .LBB0_20
; %bb.19:                               ;   in Loop: Header=BB0_21 Depth=1
	s_sleep 1
	s_cbranch_execnz .LBB0_21
	s_branch .LBB0_23
.LBB0_20:
	s_branch .LBB0_23
.LBB0_21:                               ; =>This Inner Loop Header: Depth=1
	v_mov_b32_e32 v0, 1
	s_and_saveexec_b64 s[16:17], s[6:7]
	s_cbranch_execz .LBB0_18
; %bb.22:                               ;   in Loop: Header=BB0_21 Depth=1
	global_load_dword v0, v[7:8], off offset:20 glc
	s_waitcnt vmcnt(0)
	buffer_wbinvl1_vol
	v_and_b32_e32 v0, 1, v0
	s_branch .LBB0_18
.LBB0_23:
	global_load_dwordx2 v[0:1], v[9:10], off
	s_and_saveexec_b64 s[16:17], s[6:7]
	s_cbranch_execz .LBB0_26
; %bb.24:
	v_mov_b32_e32 v8, 0
	global_load_dwordx2 v[2:3], v8, s[12:13] offset:40
	global_load_dwordx2 v[11:12], v8, s[12:13] offset:24 glc
	global_load_dwordx2 v[4:5], v8, s[12:13]
	s_waitcnt vmcnt(2)
	v_readfirstlane_b32 s18, v2
	v_readfirstlane_b32 s19, v3
	s_add_u32 s20, s18, 1
	s_addc_u32 s21, s19, 0
	s_add_u32 s6, s20, s14
	s_addc_u32 s7, s21, s15
	s_cmp_eq_u64 s[6:7], 0
	s_cselect_b32 s7, s21, s7
	s_cselect_b32 s6, s20, s6
	s_and_b64 s[14:15], s[6:7], s[18:19]
	s_mul_i32 s15, s15, 24
	s_mul_hi_u32 s18, s14, 24
	s_mul_i32 s14, s14, 24
	s_add_i32 s15, s18, s15
	v_mov_b32_e32 v2, s15
	s_waitcnt vmcnt(0)
	v_add_co_u32_e32 v6, vcc, s14, v4
	v_addc_co_u32_e32 v7, vcc, v5, v2, vcc
	v_mov_b32_e32 v9, s6
	global_store_dwordx2 v[6:7], v[11:12], off
	v_mov_b32_e32 v10, s7
	s_waitcnt vmcnt(0)
	global_atomic_cmpswap_x2 v[4:5], v8, v[9:12], s[12:13] offset:24 glc
	s_mov_b64 s[14:15], 0
	s_waitcnt vmcnt(0)
	v_cmp_ne_u64_e32 vcc, v[4:5], v[11:12]
	s_and_b64 exec, exec, vcc
	s_cbranch_execz .LBB0_26
.LBB0_25:                               ; =>This Inner Loop Header: Depth=1
	s_sleep 1
	global_store_dwordx2 v[6:7], v[4:5], off
	v_mov_b32_e32 v2, s6
	v_mov_b32_e32 v3, s7
	s_waitcnt vmcnt(0)
	global_atomic_cmpswap_x2 v[2:3], v8, v[2:5], s[12:13] offset:24 glc
	s_waitcnt vmcnt(0)
	v_cmp_eq_u64_e32 vcc, v[2:3], v[4:5]
	v_mov_b32_e32 v5, v3
	s_or_b64 s[14:15], vcc, s[14:15]
	v_mov_b32_e32 v4, v2
	s_andn2_b64 exec, exec, s[14:15]
	s_cbranch_execnz .LBB0_25
.LBB0_26:
	s_or_b64 exec, exec, s[16:17]
	s_getpc_b64 s[14:15]
	s_add_u32 s14, s14, .str@rel32@lo+4
	s_addc_u32 s15, s15, .str@rel32@hi+12
	s_cmp_lg_u64 s[14:15], 0
	s_cbranch_scc0 .LBB0_112
; %bb.27:
	s_waitcnt vmcnt(0)
	v_and_b32_e32 v32, 2, v0
	v_mov_b32_e32 v26, 0
	v_and_b32_e32 v2, -3, v0
	v_mov_b32_e32 v3, v1
	s_mov_b64 s[16:17], 48
	v_mov_b32_e32 v8, 2
	v_mov_b32_e32 v9, 1
	s_branch .LBB0_29
.LBB0_28:                               ;   in Loop: Header=BB0_29 Depth=1
	s_or_b64 exec, exec, s[22:23]
	s_sub_u32 s16, s16, s18
	s_subb_u32 s17, s17, s19
	s_add_u32 s14, s14, s18
	s_addc_u32 s15, s15, s19
	s_cmp_lg_u64 s[16:17], 0
	s_cbranch_scc0 .LBB0_111
.LBB0_29:                               ; =>This Loop Header: Depth=1
                                        ;     Child Loop BB0_32 Depth 2
                                        ;     Child Loop BB0_40 Depth 2
	;; [unrolled: 1-line block ×11, first 2 shown]
	v_cmp_lt_u64_e64 s[6:7], s[16:17], 56
	v_cmp_gt_u64_e64 s[20:21], s[16:17], 7
	s_and_b64 s[6:7], s[6:7], exec
	s_cselect_b32 s19, s17, 0
	s_cselect_b32 s18, s16, 56
	s_add_u32 s6, s14, 8
	s_addc_u32 s7, s15, 0
	s_and_b64 vcc, exec, s[20:21]
	s_cbranch_vccnz .LBB0_33
; %bb.30:                               ;   in Loop: Header=BB0_29 Depth=1
	s_cmp_eq_u64 s[16:17], 0
	s_cbranch_scc1 .LBB0_34
; %bb.31:                               ;   in Loop: Header=BB0_29 Depth=1
	v_mov_b32_e32 v4, 0
	s_lshl_b64 s[6:7], s[18:19], 3
	s_mov_b64 s[20:21], 0
	v_mov_b32_e32 v5, 0
	s_mov_b64 s[22:23], s[14:15]
.LBB0_32:                               ;   Parent Loop BB0_29 Depth=1
                                        ; =>  This Inner Loop Header: Depth=2
	global_load_ubyte v6, v26, s[22:23]
	s_waitcnt vmcnt(0)
	v_and_b32_e32 v25, 0xffff, v6
	v_lshlrev_b64 v[6:7], s20, v[25:26]
	s_add_u32 s20, s20, 8
	s_addc_u32 s21, s21, 0
	s_add_u32 s22, s22, 1
	s_addc_u32 s23, s23, 0
	v_or_b32_e32 v4, v6, v4
	s_cmp_lg_u32 s6, s20
	v_or_b32_e32 v5, v7, v5
	s_cbranch_scc1 .LBB0_32
	s_branch .LBB0_35
.LBB0_33:                               ;   in Loop: Header=BB0_29 Depth=1
	s_mov_b32 s24, 0
	s_branch .LBB0_36
.LBB0_34:                               ;   in Loop: Header=BB0_29 Depth=1
	v_mov_b32_e32 v4, 0
	v_mov_b32_e32 v5, 0
.LBB0_35:                               ;   in Loop: Header=BB0_29 Depth=1
	s_mov_b64 s[6:7], s[14:15]
	s_mov_b32 s24, 0
	s_cbranch_execnz .LBB0_37
.LBB0_36:                               ;   in Loop: Header=BB0_29 Depth=1
	global_load_dwordx2 v[4:5], v26, s[14:15]
	s_add_i32 s24, s18, -8
.LBB0_37:                               ;   in Loop: Header=BB0_29 Depth=1
	s_add_u32 s20, s6, 8
	s_addc_u32 s21, s7, 0
	s_cmp_gt_u32 s24, 7
	s_cbranch_scc1 .LBB0_41
; %bb.38:                               ;   in Loop: Header=BB0_29 Depth=1
	s_cmp_eq_u32 s24, 0
	s_cbranch_scc1 .LBB0_42
; %bb.39:                               ;   in Loop: Header=BB0_29 Depth=1
	v_mov_b32_e32 v10, 0
	s_mov_b64 s[20:21], 0
	v_mov_b32_e32 v11, 0
	s_mov_b64 s[22:23], 0
.LBB0_40:                               ;   Parent Loop BB0_29 Depth=1
                                        ; =>  This Inner Loop Header: Depth=2
	s_add_u32 s26, s6, s22
	s_addc_u32 s27, s7, s23
	global_load_ubyte v6, v26, s[26:27]
	s_add_u32 s22, s22, 1
	s_addc_u32 s23, s23, 0
	s_waitcnt vmcnt(0)
	v_and_b32_e32 v25, 0xffff, v6
	v_lshlrev_b64 v[6:7], s20, v[25:26]
	s_add_u32 s20, s20, 8
	s_addc_u32 s21, s21, 0
	v_or_b32_e32 v10, v6, v10
	s_cmp_lg_u32 s24, s22
	v_or_b32_e32 v11, v7, v11
	s_cbranch_scc1 .LBB0_40
	s_branch .LBB0_43
.LBB0_41:                               ;   in Loop: Header=BB0_29 Depth=1
                                        ; implicit-def: $vgpr10_vgpr11
	s_mov_b32 s25, 0
	s_branch .LBB0_44
.LBB0_42:                               ;   in Loop: Header=BB0_29 Depth=1
	v_mov_b32_e32 v10, 0
	v_mov_b32_e32 v11, 0
.LBB0_43:                               ;   in Loop: Header=BB0_29 Depth=1
	s_mov_b64 s[20:21], s[6:7]
	s_mov_b32 s25, 0
	s_cbranch_execnz .LBB0_45
.LBB0_44:                               ;   in Loop: Header=BB0_29 Depth=1
	global_load_dwordx2 v[10:11], v26, s[6:7]
	s_add_i32 s25, s24, -8
.LBB0_45:                               ;   in Loop: Header=BB0_29 Depth=1
	s_add_u32 s6, s20, 8
	s_addc_u32 s7, s21, 0
	s_cmp_gt_u32 s25, 7
	s_cbranch_scc1 .LBB0_49
; %bb.46:                               ;   in Loop: Header=BB0_29 Depth=1
	s_cmp_eq_u32 s25, 0
	s_cbranch_scc1 .LBB0_50
; %bb.47:                               ;   in Loop: Header=BB0_29 Depth=1
	v_mov_b32_e32 v12, 0
	s_mov_b64 s[6:7], 0
	v_mov_b32_e32 v13, 0
	s_mov_b64 s[22:23], 0
.LBB0_48:                               ;   Parent Loop BB0_29 Depth=1
                                        ; =>  This Inner Loop Header: Depth=2
	s_add_u32 s26, s20, s22
	s_addc_u32 s27, s21, s23
	global_load_ubyte v6, v26, s[26:27]
	s_add_u32 s22, s22, 1
	s_addc_u32 s23, s23, 0
	s_waitcnt vmcnt(0)
	v_and_b32_e32 v25, 0xffff, v6
	v_lshlrev_b64 v[6:7], s6, v[25:26]
	s_add_u32 s6, s6, 8
	s_addc_u32 s7, s7, 0
	v_or_b32_e32 v12, v6, v12
	s_cmp_lg_u32 s25, s22
	v_or_b32_e32 v13, v7, v13
	s_cbranch_scc1 .LBB0_48
	s_branch .LBB0_51
.LBB0_49:                               ;   in Loop: Header=BB0_29 Depth=1
	s_mov_b32 s24, 0
	s_branch .LBB0_52
.LBB0_50:                               ;   in Loop: Header=BB0_29 Depth=1
	v_mov_b32_e32 v12, 0
	v_mov_b32_e32 v13, 0
.LBB0_51:                               ;   in Loop: Header=BB0_29 Depth=1
	s_mov_b64 s[6:7], s[20:21]
	s_mov_b32 s24, 0
	s_cbranch_execnz .LBB0_53
.LBB0_52:                               ;   in Loop: Header=BB0_29 Depth=1
	global_load_dwordx2 v[12:13], v26, s[20:21]
	s_add_i32 s24, s25, -8
.LBB0_53:                               ;   in Loop: Header=BB0_29 Depth=1
	s_add_u32 s20, s6, 8
	s_addc_u32 s21, s7, 0
	s_cmp_gt_u32 s24, 7
	s_cbranch_scc1 .LBB0_57
; %bb.54:                               ;   in Loop: Header=BB0_29 Depth=1
	s_cmp_eq_u32 s24, 0
	s_cbranch_scc1 .LBB0_58
; %bb.55:                               ;   in Loop: Header=BB0_29 Depth=1
	v_mov_b32_e32 v14, 0
	s_mov_b64 s[20:21], 0
	v_mov_b32_e32 v15, 0
	s_mov_b64 s[22:23], 0
.LBB0_56:                               ;   Parent Loop BB0_29 Depth=1
                                        ; =>  This Inner Loop Header: Depth=2
	s_add_u32 s26, s6, s22
	s_addc_u32 s27, s7, s23
	global_load_ubyte v6, v26, s[26:27]
	s_add_u32 s22, s22, 1
	s_addc_u32 s23, s23, 0
	s_waitcnt vmcnt(0)
	v_and_b32_e32 v25, 0xffff, v6
	v_lshlrev_b64 v[6:7], s20, v[25:26]
	s_add_u32 s20, s20, 8
	s_addc_u32 s21, s21, 0
	v_or_b32_e32 v14, v6, v14
	s_cmp_lg_u32 s24, s22
	v_or_b32_e32 v15, v7, v15
	s_cbranch_scc1 .LBB0_56
	s_branch .LBB0_59
.LBB0_57:                               ;   in Loop: Header=BB0_29 Depth=1
                                        ; implicit-def: $vgpr14_vgpr15
	s_mov_b32 s25, 0
	s_branch .LBB0_60
.LBB0_58:                               ;   in Loop: Header=BB0_29 Depth=1
	v_mov_b32_e32 v14, 0
	v_mov_b32_e32 v15, 0
.LBB0_59:                               ;   in Loop: Header=BB0_29 Depth=1
	s_mov_b64 s[20:21], s[6:7]
	s_mov_b32 s25, 0
	s_cbranch_execnz .LBB0_61
.LBB0_60:                               ;   in Loop: Header=BB0_29 Depth=1
	global_load_dwordx2 v[14:15], v26, s[6:7]
	s_add_i32 s25, s24, -8
.LBB0_61:                               ;   in Loop: Header=BB0_29 Depth=1
	s_add_u32 s6, s20, 8
	s_addc_u32 s7, s21, 0
	s_cmp_gt_u32 s25, 7
	s_cbranch_scc1 .LBB0_65
; %bb.62:                               ;   in Loop: Header=BB0_29 Depth=1
	s_cmp_eq_u32 s25, 0
	s_cbranch_scc1 .LBB0_66
; %bb.63:                               ;   in Loop: Header=BB0_29 Depth=1
	v_mov_b32_e32 v16, 0
	s_mov_b64 s[6:7], 0
	v_mov_b32_e32 v17, 0
	s_mov_b64 s[22:23], 0
.LBB0_64:                               ;   Parent Loop BB0_29 Depth=1
                                        ; =>  This Inner Loop Header: Depth=2
	s_add_u32 s26, s20, s22
	s_addc_u32 s27, s21, s23
	global_load_ubyte v6, v26, s[26:27]
	s_add_u32 s22, s22, 1
	s_addc_u32 s23, s23, 0
	s_waitcnt vmcnt(0)
	v_and_b32_e32 v25, 0xffff, v6
	v_lshlrev_b64 v[6:7], s6, v[25:26]
	s_add_u32 s6, s6, 8
	s_addc_u32 s7, s7, 0
	v_or_b32_e32 v16, v6, v16
	s_cmp_lg_u32 s25, s22
	v_or_b32_e32 v17, v7, v17
	s_cbranch_scc1 .LBB0_64
	s_branch .LBB0_67
.LBB0_65:                               ;   in Loop: Header=BB0_29 Depth=1
	s_mov_b32 s24, 0
	s_branch .LBB0_68
.LBB0_66:                               ;   in Loop: Header=BB0_29 Depth=1
	v_mov_b32_e32 v16, 0
	v_mov_b32_e32 v17, 0
.LBB0_67:                               ;   in Loop: Header=BB0_29 Depth=1
	s_mov_b64 s[6:7], s[20:21]
	s_mov_b32 s24, 0
	s_cbranch_execnz .LBB0_69
.LBB0_68:                               ;   in Loop: Header=BB0_29 Depth=1
	global_load_dwordx2 v[16:17], v26, s[20:21]
	s_add_i32 s24, s25, -8
.LBB0_69:                               ;   in Loop: Header=BB0_29 Depth=1
	s_add_u32 s20, s6, 8
	s_addc_u32 s21, s7, 0
	s_cmp_gt_u32 s24, 7
	s_cbranch_scc1 .LBB0_73
; %bb.70:                               ;   in Loop: Header=BB0_29 Depth=1
	s_cmp_eq_u32 s24, 0
	s_cbranch_scc1 .LBB0_74
; %bb.71:                               ;   in Loop: Header=BB0_29 Depth=1
	v_mov_b32_e32 v18, 0
	s_mov_b64 s[20:21], 0
	v_mov_b32_e32 v19, 0
	s_mov_b64 s[22:23], 0
.LBB0_72:                               ;   Parent Loop BB0_29 Depth=1
                                        ; =>  This Inner Loop Header: Depth=2
	s_add_u32 s26, s6, s22
	s_addc_u32 s27, s7, s23
	global_load_ubyte v6, v26, s[26:27]
	s_add_u32 s22, s22, 1
	s_addc_u32 s23, s23, 0
	s_waitcnt vmcnt(0)
	v_and_b32_e32 v25, 0xffff, v6
	v_lshlrev_b64 v[6:7], s20, v[25:26]
	s_add_u32 s20, s20, 8
	s_addc_u32 s21, s21, 0
	v_or_b32_e32 v18, v6, v18
	s_cmp_lg_u32 s24, s22
	v_or_b32_e32 v19, v7, v19
	s_cbranch_scc1 .LBB0_72
	s_branch .LBB0_75
.LBB0_73:                               ;   in Loop: Header=BB0_29 Depth=1
                                        ; implicit-def: $vgpr18_vgpr19
	s_mov_b32 s25, 0
	s_branch .LBB0_76
.LBB0_74:                               ;   in Loop: Header=BB0_29 Depth=1
	v_mov_b32_e32 v18, 0
	v_mov_b32_e32 v19, 0
.LBB0_75:                               ;   in Loop: Header=BB0_29 Depth=1
	s_mov_b64 s[20:21], s[6:7]
	s_mov_b32 s25, 0
	s_cbranch_execnz .LBB0_77
.LBB0_76:                               ;   in Loop: Header=BB0_29 Depth=1
	global_load_dwordx2 v[18:19], v26, s[6:7]
	s_add_i32 s25, s24, -8
.LBB0_77:                               ;   in Loop: Header=BB0_29 Depth=1
	s_cmp_gt_u32 s25, 7
	s_cbranch_scc1 .LBB0_81
; %bb.78:                               ;   in Loop: Header=BB0_29 Depth=1
	s_cmp_eq_u32 s25, 0
	s_cbranch_scc1 .LBB0_82
; %bb.79:                               ;   in Loop: Header=BB0_29 Depth=1
	v_mov_b32_e32 v20, 0
	s_mov_b64 s[6:7], 0
	v_mov_b32_e32 v21, 0
	s_mov_b64 s[22:23], s[20:21]
.LBB0_80:                               ;   Parent Loop BB0_29 Depth=1
                                        ; =>  This Inner Loop Header: Depth=2
	global_load_ubyte v6, v26, s[22:23]
	s_add_i32 s25, s25, -1
	s_waitcnt vmcnt(0)
	v_and_b32_e32 v25, 0xffff, v6
	v_lshlrev_b64 v[6:7], s6, v[25:26]
	s_add_u32 s6, s6, 8
	s_addc_u32 s7, s7, 0
	s_add_u32 s22, s22, 1
	s_addc_u32 s23, s23, 0
	v_or_b32_e32 v20, v6, v20
	s_cmp_lg_u32 s25, 0
	v_or_b32_e32 v21, v7, v21
	s_cbranch_scc1 .LBB0_80
	s_branch .LBB0_83
.LBB0_81:                               ;   in Loop: Header=BB0_29 Depth=1
	s_branch .LBB0_84
.LBB0_82:                               ;   in Loop: Header=BB0_29 Depth=1
	v_mov_b32_e32 v20, 0
	v_mov_b32_e32 v21, 0
.LBB0_83:                               ;   in Loop: Header=BB0_29 Depth=1
	s_cbranch_execnz .LBB0_85
.LBB0_84:                               ;   in Loop: Header=BB0_29 Depth=1
	global_load_dwordx2 v[20:21], v26, s[20:21]
.LBB0_85:                               ;   in Loop: Header=BB0_29 Depth=1
	v_readfirstlane_b32 s6, v31
	v_mov_b32_e32 v6, 0
	v_mov_b32_e32 v7, 0
	v_cmp_eq_u32_e64 s[6:7], s6, v31
	s_and_saveexec_b64 s[20:21], s[6:7]
	s_cbranch_execz .LBB0_91
; %bb.86:                               ;   in Loop: Header=BB0_29 Depth=1
	global_load_dwordx2 v[24:25], v26, s[12:13] offset:24 glc
	s_waitcnt vmcnt(0)
	buffer_wbinvl1_vol
	global_load_dwordx2 v[6:7], v26, s[12:13] offset:40
	global_load_dwordx2 v[22:23], v26, s[12:13]
	s_waitcnt vmcnt(1)
	v_and_b32_e32 v6, v6, v24
	v_and_b32_e32 v7, v7, v25
	v_mul_lo_u32 v7, v7, 24
	v_mul_hi_u32 v27, v6, 24
	v_mul_lo_u32 v6, v6, 24
	v_add_u32_e32 v7, v27, v7
	s_waitcnt vmcnt(0)
	v_add_co_u32_e32 v6, vcc, v22, v6
	v_addc_co_u32_e32 v7, vcc, v23, v7, vcc
	global_load_dwordx2 v[22:23], v[6:7], off glc
	s_waitcnt vmcnt(0)
	global_atomic_cmpswap_x2 v[6:7], v26, v[22:25], s[12:13] offset:24 glc
	s_waitcnt vmcnt(0)
	buffer_wbinvl1_vol
	v_cmp_ne_u64_e32 vcc, v[6:7], v[24:25]
	s_and_saveexec_b64 s[22:23], vcc
	s_cbranch_execz .LBB0_90
; %bb.87:                               ;   in Loop: Header=BB0_29 Depth=1
	s_mov_b64 s[24:25], 0
.LBB0_88:                               ;   Parent Loop BB0_29 Depth=1
                                        ; =>  This Inner Loop Header: Depth=2
	s_sleep 1
	global_load_dwordx2 v[22:23], v26, s[12:13] offset:40
	global_load_dwordx2 v[27:28], v26, s[12:13]
	v_mov_b32_e32 v25, v7
	v_mov_b32_e32 v24, v6
	s_waitcnt vmcnt(1)
	v_and_b32_e32 v6, v22, v24
	s_waitcnt vmcnt(0)
	v_mad_u64_u32 v[6:7], s[26:27], v6, 24, v[27:28]
	v_and_b32_e32 v22, v23, v25
	v_mad_u64_u32 v[22:23], s[26:27], v22, 24, v[7:8]
	v_mov_b32_e32 v7, v22
	global_load_dwordx2 v[22:23], v[6:7], off glc
	s_waitcnt vmcnt(0)
	global_atomic_cmpswap_x2 v[6:7], v26, v[22:25], s[12:13] offset:24 glc
	s_waitcnt vmcnt(0)
	buffer_wbinvl1_vol
	v_cmp_eq_u64_e32 vcc, v[6:7], v[24:25]
	s_or_b64 s[24:25], vcc, s[24:25]
	s_andn2_b64 exec, exec, s[24:25]
	s_cbranch_execnz .LBB0_88
; %bb.89:                               ;   in Loop: Header=BB0_29 Depth=1
	s_or_b64 exec, exec, s[24:25]
.LBB0_90:                               ;   in Loop: Header=BB0_29 Depth=1
	s_or_b64 exec, exec, s[22:23]
.LBB0_91:                               ;   in Loop: Header=BB0_29 Depth=1
	s_or_b64 exec, exec, s[20:21]
	global_load_dwordx2 v[27:28], v26, s[12:13] offset:40
	global_load_dwordx4 v[22:25], v26, s[12:13]
	v_readfirstlane_b32 s21, v7
	v_readfirstlane_b32 s20, v6
	s_mov_b64 s[22:23], exec
	s_waitcnt vmcnt(1)
	v_readfirstlane_b32 s24, v27
	v_readfirstlane_b32 s25, v28
	s_and_b64 s[24:25], s[24:25], s[20:21]
	s_mul_i32 s26, s25, 24
	s_mul_hi_u32 s27, s24, 24
	s_mul_i32 s31, s24, 24
	s_add_i32 s26, s27, s26
	v_mov_b32_e32 v6, s26
	s_waitcnt vmcnt(0)
	v_add_co_u32_e32 v27, vcc, s31, v22
	v_addc_co_u32_e32 v28, vcc, v23, v6, vcc
	s_and_saveexec_b64 s[26:27], s[6:7]
	s_cbranch_execz .LBB0_93
; %bb.92:                               ;   in Loop: Header=BB0_29 Depth=1
	v_mov_b32_e32 v6, s22
	v_mov_b32_e32 v7, s23
	global_store_dwordx4 v[27:28], v[6:9], off offset:8
.LBB0_93:                               ;   in Loop: Header=BB0_29 Depth=1
	s_or_b64 exec, exec, s[26:27]
	s_lshl_b64 s[22:23], s[24:25], 12
	v_mov_b32_e32 v6, s23
	v_add_co_u32_e32 v24, vcc, s22, v24
	v_addc_co_u32_e32 v33, vcc, v25, v6, vcc
	v_cmp_lt_u64_e64 vcc, s[16:17], 57
	s_lshl_b32 s22, s18, 2
	v_cndmask_b32_e32 v6, 0, v32, vcc
	s_add_i32 s22, s22, 28
	v_and_b32_e32 v2, 0xffffff1f, v2
	s_and_b32 s22, s22, 0x1e0
	v_or_b32_e32 v2, v2, v6
	v_or_b32_e32 v2, s22, v2
	v_readfirstlane_b32 s22, v24
	v_readfirstlane_b32 s23, v33
	s_nop 4
	global_store_dwordx4 v30, v[2:5], s[22:23]
	global_store_dwordx4 v30, v[10:13], s[22:23] offset:16
	global_store_dwordx4 v30, v[14:17], s[22:23] offset:32
	;; [unrolled: 1-line block ×3, first 2 shown]
	s_and_saveexec_b64 s[22:23], s[6:7]
	s_cbranch_execz .LBB0_101
; %bb.94:                               ;   in Loop: Header=BB0_29 Depth=1
	global_load_dwordx2 v[12:13], v26, s[12:13] offset:32 glc
	global_load_dwordx2 v[2:3], v26, s[12:13] offset:40
	v_mov_b32_e32 v10, s20
	v_mov_b32_e32 v11, s21
	s_waitcnt vmcnt(0)
	v_readfirstlane_b32 s24, v2
	v_readfirstlane_b32 s25, v3
	s_and_b64 s[24:25], s[24:25], s[20:21]
	s_mul_i32 s25, s25, 24
	s_mul_hi_u32 s26, s24, 24
	s_mul_i32 s24, s24, 24
	s_add_i32 s25, s26, s25
	v_mov_b32_e32 v2, s25
	v_add_co_u32_e32 v6, vcc, s24, v22
	v_addc_co_u32_e32 v7, vcc, v23, v2, vcc
	global_store_dwordx2 v[6:7], v[12:13], off
	s_waitcnt vmcnt(0)
	global_atomic_cmpswap_x2 v[4:5], v26, v[10:13], s[12:13] offset:32 glc
	s_waitcnt vmcnt(0)
	v_cmp_ne_u64_e32 vcc, v[4:5], v[12:13]
	s_and_saveexec_b64 s[24:25], vcc
	s_cbranch_execz .LBB0_97
; %bb.95:                               ;   in Loop: Header=BB0_29 Depth=1
	s_mov_b64 s[26:27], 0
.LBB0_96:                               ;   Parent Loop BB0_29 Depth=1
                                        ; =>  This Inner Loop Header: Depth=2
	s_sleep 1
	global_store_dwordx2 v[6:7], v[4:5], off
	v_mov_b32_e32 v2, s20
	v_mov_b32_e32 v3, s21
	s_waitcnt vmcnt(0)
	global_atomic_cmpswap_x2 v[2:3], v26, v[2:5], s[12:13] offset:32 glc
	s_waitcnt vmcnt(0)
	v_cmp_eq_u64_e32 vcc, v[2:3], v[4:5]
	v_mov_b32_e32 v5, v3
	s_or_b64 s[26:27], vcc, s[26:27]
	v_mov_b32_e32 v4, v2
	s_andn2_b64 exec, exec, s[26:27]
	s_cbranch_execnz .LBB0_96
.LBB0_97:                               ;   in Loop: Header=BB0_29 Depth=1
	s_or_b64 exec, exec, s[24:25]
	global_load_dwordx2 v[2:3], v26, s[12:13] offset:16
	s_mov_b64 s[26:27], exec
	v_mbcnt_lo_u32_b32 v4, s26, 0
	v_mbcnt_hi_u32_b32 v4, s27, v4
	v_cmp_eq_u32_e32 vcc, 0, v4
	s_and_saveexec_b64 s[24:25], vcc
	s_cbranch_execz .LBB0_99
; %bb.98:                               ;   in Loop: Header=BB0_29 Depth=1
	s_bcnt1_i32_b64 s26, s[26:27]
	v_mov_b32_e32 v25, s26
	s_waitcnt vmcnt(0)
	global_atomic_add_x2 v[2:3], v[25:26], off offset:8
.LBB0_99:                               ;   in Loop: Header=BB0_29 Depth=1
	s_or_b64 exec, exec, s[24:25]
	s_waitcnt vmcnt(0)
	global_load_dwordx2 v[4:5], v[2:3], off offset:16
	s_waitcnt vmcnt(0)
	v_cmp_eq_u64_e32 vcc, 0, v[4:5]
	s_cbranch_vccnz .LBB0_101
; %bb.100:                              ;   in Loop: Header=BB0_29 Depth=1
	global_load_dword v25, v[2:3], off offset:24
	s_waitcnt vmcnt(0)
	v_readfirstlane_b32 s24, v25
	s_and_b32 m0, s24, 0xffffff
	global_store_dwordx2 v[4:5], v[25:26], off
	s_sendmsg sendmsg(MSG_INTERRUPT)
.LBB0_101:                              ;   in Loop: Header=BB0_29 Depth=1
	s_or_b64 exec, exec, s[22:23]
	v_add_co_u32_e32 v2, vcc, v24, v30
	v_addc_co_u32_e32 v3, vcc, 0, v33, vcc
	s_branch .LBB0_105
.LBB0_102:                              ;   in Loop: Header=BB0_105 Depth=2
	s_or_b64 exec, exec, s[22:23]
	v_readfirstlane_b32 s22, v4
	s_cmp_eq_u32 s22, 0
	s_cbranch_scc1 .LBB0_104
; %bb.103:                              ;   in Loop: Header=BB0_105 Depth=2
	s_sleep 1
	s_cbranch_execnz .LBB0_105
	s_branch .LBB0_107
.LBB0_104:                              ;   in Loop: Header=BB0_29 Depth=1
	s_branch .LBB0_107
.LBB0_105:                              ;   Parent Loop BB0_29 Depth=1
                                        ; =>  This Inner Loop Header: Depth=2
	v_mov_b32_e32 v4, 1
	s_and_saveexec_b64 s[22:23], s[6:7]
	s_cbranch_execz .LBB0_102
; %bb.106:                              ;   in Loop: Header=BB0_105 Depth=2
	global_load_dword v4, v[27:28], off offset:20 glc
	s_waitcnt vmcnt(0)
	buffer_wbinvl1_vol
	v_and_b32_e32 v4, 1, v4
	s_branch .LBB0_102
.LBB0_107:                              ;   in Loop: Header=BB0_29 Depth=1
	global_load_dwordx2 v[2:3], v[2:3], off
	s_and_saveexec_b64 s[22:23], s[6:7]
	s_cbranch_execz .LBB0_28
; %bb.108:                              ;   in Loop: Header=BB0_29 Depth=1
	global_load_dwordx2 v[4:5], v26, s[12:13] offset:40
	global_load_dwordx2 v[14:15], v26, s[12:13] offset:24 glc
	global_load_dwordx2 v[6:7], v26, s[12:13]
	s_waitcnt vmcnt(2)
	v_readfirstlane_b32 s24, v4
	v_readfirstlane_b32 s25, v5
	s_add_u32 s26, s24, 1
	s_addc_u32 s27, s25, 0
	s_add_u32 s6, s26, s20
	s_addc_u32 s7, s27, s21
	s_cmp_eq_u64 s[6:7], 0
	s_cselect_b32 s7, s27, s7
	s_cselect_b32 s6, s26, s6
	s_and_b64 s[20:21], s[6:7], s[24:25]
	s_mul_i32 s21, s21, 24
	s_mul_hi_u32 s24, s20, 24
	s_mul_i32 s20, s20, 24
	s_add_i32 s21, s24, s21
	v_mov_b32_e32 v4, s21
	s_waitcnt vmcnt(0)
	v_add_co_u32_e32 v10, vcc, s20, v6
	v_addc_co_u32_e32 v11, vcc, v7, v4, vcc
	v_mov_b32_e32 v12, s6
	global_store_dwordx2 v[10:11], v[14:15], off
	v_mov_b32_e32 v13, s7
	s_waitcnt vmcnt(0)
	global_atomic_cmpswap_x2 v[6:7], v26, v[12:15], s[12:13] offset:24 glc
	s_waitcnt vmcnt(0)
	v_cmp_ne_u64_e32 vcc, v[6:7], v[14:15]
	s_and_b64 exec, exec, vcc
	s_cbranch_execz .LBB0_28
; %bb.109:                              ;   in Loop: Header=BB0_29 Depth=1
	s_mov_b64 s[20:21], 0
.LBB0_110:                              ;   Parent Loop BB0_29 Depth=1
                                        ; =>  This Inner Loop Header: Depth=2
	s_sleep 1
	global_store_dwordx2 v[10:11], v[6:7], off
	v_mov_b32_e32 v4, s6
	v_mov_b32_e32 v5, s7
	s_waitcnt vmcnt(0)
	global_atomic_cmpswap_x2 v[4:5], v26, v[4:7], s[12:13] offset:24 glc
	s_waitcnt vmcnt(0)
	v_cmp_eq_u64_e32 vcc, v[4:5], v[6:7]
	v_mov_b32_e32 v7, v5
	s_or_b64 s[20:21], vcc, s[20:21]
	v_mov_b32_e32 v6, v4
	s_andn2_b64 exec, exec, s[20:21]
	s_cbranch_execnz .LBB0_110
	s_branch .LBB0_28
.LBB0_111:
	s_branch .LBB0_139
.LBB0_112:
                                        ; implicit-def: $vgpr2_vgpr3
	s_cbranch_execz .LBB0_139
; %bb.113:
	v_readfirstlane_b32 s6, v31
	v_mov_b32_e32 v8, 0
	v_mov_b32_e32 v9, 0
	v_cmp_eq_u32_e64 s[6:7], s6, v31
	s_and_saveexec_b64 s[14:15], s[6:7]
	s_cbranch_execz .LBB0_119
; %bb.114:
	s_waitcnt vmcnt(0)
	v_mov_b32_e32 v2, 0
	global_load_dwordx2 v[5:6], v2, s[12:13] offset:24 glc
	s_waitcnt vmcnt(0)
	buffer_wbinvl1_vol
	global_load_dwordx2 v[3:4], v2, s[12:13] offset:40
	global_load_dwordx2 v[7:8], v2, s[12:13]
	s_waitcnt vmcnt(1)
	v_and_b32_e32 v3, v3, v5
	v_and_b32_e32 v4, v4, v6
	v_mul_lo_u32 v4, v4, 24
	v_mul_hi_u32 v9, v3, 24
	v_mul_lo_u32 v3, v3, 24
	v_add_u32_e32 v4, v9, v4
	s_waitcnt vmcnt(0)
	v_add_co_u32_e32 v3, vcc, v7, v3
	v_addc_co_u32_e32 v4, vcc, v8, v4, vcc
	global_load_dwordx2 v[3:4], v[3:4], off glc
	s_waitcnt vmcnt(0)
	global_atomic_cmpswap_x2 v[8:9], v2, v[3:6], s[12:13] offset:24 glc
	s_waitcnt vmcnt(0)
	buffer_wbinvl1_vol
	v_cmp_ne_u64_e32 vcc, v[8:9], v[5:6]
	s_and_saveexec_b64 s[16:17], vcc
	s_cbranch_execz .LBB0_118
; %bb.115:
	s_mov_b64 s[18:19], 0
.LBB0_116:                              ; =>This Inner Loop Header: Depth=1
	s_sleep 1
	global_load_dwordx2 v[3:4], v2, s[12:13] offset:40
	global_load_dwordx2 v[10:11], v2, s[12:13]
	v_mov_b32_e32 v5, v8
	v_mov_b32_e32 v6, v9
	s_waitcnt vmcnt(1)
	v_and_b32_e32 v3, v3, v5
	s_waitcnt vmcnt(0)
	v_mad_u64_u32 v[7:8], s[20:21], v3, 24, v[10:11]
	v_and_b32_e32 v4, v4, v6
	v_mov_b32_e32 v3, v8
	v_mad_u64_u32 v[3:4], s[20:21], v4, 24, v[3:4]
	v_mov_b32_e32 v8, v3
	global_load_dwordx2 v[3:4], v[7:8], off glc
	s_waitcnt vmcnt(0)
	global_atomic_cmpswap_x2 v[8:9], v2, v[3:6], s[12:13] offset:24 glc
	s_waitcnt vmcnt(0)
	buffer_wbinvl1_vol
	v_cmp_eq_u64_e32 vcc, v[8:9], v[5:6]
	s_or_b64 s[18:19], vcc, s[18:19]
	s_andn2_b64 exec, exec, s[18:19]
	s_cbranch_execnz .LBB0_116
; %bb.117:
	s_or_b64 exec, exec, s[18:19]
.LBB0_118:
	s_or_b64 exec, exec, s[16:17]
.LBB0_119:
	s_or_b64 exec, exec, s[14:15]
	s_waitcnt vmcnt(0)
	v_mov_b32_e32 v2, 0
	global_load_dwordx2 v[10:11], v2, s[12:13] offset:40
	global_load_dwordx4 v[4:7], v2, s[12:13]
	v_readfirstlane_b32 s15, v9
	v_readfirstlane_b32 s14, v8
	s_mov_b64 s[16:17], exec
	s_waitcnt vmcnt(1)
	v_readfirstlane_b32 s18, v10
	v_readfirstlane_b32 s19, v11
	s_and_b64 s[18:19], s[18:19], s[14:15]
	s_mul_i32 s20, s19, 24
	s_mul_hi_u32 s21, s18, 24
	s_mul_i32 s22, s18, 24
	s_add_i32 s20, s21, s20
	v_mov_b32_e32 v3, s20
	s_waitcnt vmcnt(0)
	v_add_co_u32_e32 v8, vcc, s22, v4
	v_addc_co_u32_e32 v9, vcc, v5, v3, vcc
	s_and_saveexec_b64 s[20:21], s[6:7]
	s_cbranch_execz .LBB0_121
; %bb.120:
	v_mov_b32_e32 v10, s16
	v_mov_b32_e32 v11, s17
	;; [unrolled: 1-line block ×4, first 2 shown]
	global_store_dwordx4 v[8:9], v[10:13], off offset:8
.LBB0_121:
	s_or_b64 exec, exec, s[20:21]
	s_lshl_b64 s[16:17], s[18:19], 12
	v_mov_b32_e32 v3, s17
	v_add_co_u32_e32 v10, vcc, s16, v6
	v_addc_co_u32_e32 v11, vcc, v7, v3, vcc
	s_movk_i32 s16, 0xff1f
	v_and_or_b32 v0, v0, s16, 32
	s_mov_b32 s16, 0
	v_mov_b32_e32 v3, v2
	v_readfirstlane_b32 s20, v10
	v_readfirstlane_b32 s21, v11
	v_add_co_u32_e32 v6, vcc, v10, v30
	s_mov_b32 s17, s16
	s_mov_b32 s18, s16
	;; [unrolled: 1-line block ×3, first 2 shown]
	s_nop 0
	global_store_dwordx4 v30, v[0:3], s[20:21]
	v_addc_co_u32_e32 v7, vcc, 0, v11, vcc
	v_mov_b32_e32 v0, s16
	v_mov_b32_e32 v1, s17
	;; [unrolled: 1-line block ×4, first 2 shown]
	global_store_dwordx4 v30, v[0:3], s[20:21] offset:16
	global_store_dwordx4 v30, v[0:3], s[20:21] offset:32
	;; [unrolled: 1-line block ×3, first 2 shown]
	s_and_saveexec_b64 s[16:17], s[6:7]
	s_cbranch_execz .LBB0_129
; %bb.122:
	v_mov_b32_e32 v10, 0
	global_load_dwordx2 v[13:14], v10, s[12:13] offset:32 glc
	global_load_dwordx2 v[0:1], v10, s[12:13] offset:40
	v_mov_b32_e32 v11, s14
	v_mov_b32_e32 v12, s15
	s_waitcnt vmcnt(0)
	v_readfirstlane_b32 s18, v0
	v_readfirstlane_b32 s19, v1
	s_and_b64 s[18:19], s[18:19], s[14:15]
	s_mul_i32 s19, s19, 24
	s_mul_hi_u32 s20, s18, 24
	s_mul_i32 s18, s18, 24
	s_add_i32 s19, s20, s19
	v_mov_b32_e32 v0, s19
	v_add_co_u32_e32 v4, vcc, s18, v4
	v_addc_co_u32_e32 v5, vcc, v5, v0, vcc
	global_store_dwordx2 v[4:5], v[13:14], off
	s_waitcnt vmcnt(0)
	global_atomic_cmpswap_x2 v[2:3], v10, v[11:14], s[12:13] offset:32 glc
	s_waitcnt vmcnt(0)
	v_cmp_ne_u64_e32 vcc, v[2:3], v[13:14]
	s_and_saveexec_b64 s[18:19], vcc
	s_cbranch_execz .LBB0_125
; %bb.123:
	s_mov_b64 s[20:21], 0
.LBB0_124:                              ; =>This Inner Loop Header: Depth=1
	s_sleep 1
	global_store_dwordx2 v[4:5], v[2:3], off
	v_mov_b32_e32 v0, s14
	v_mov_b32_e32 v1, s15
	s_waitcnt vmcnt(0)
	global_atomic_cmpswap_x2 v[0:1], v10, v[0:3], s[12:13] offset:32 glc
	s_waitcnt vmcnt(0)
	v_cmp_eq_u64_e32 vcc, v[0:1], v[2:3]
	v_mov_b32_e32 v3, v1
	s_or_b64 s[20:21], vcc, s[20:21]
	v_mov_b32_e32 v2, v0
	s_andn2_b64 exec, exec, s[20:21]
	s_cbranch_execnz .LBB0_124
.LBB0_125:
	s_or_b64 exec, exec, s[18:19]
	v_mov_b32_e32 v3, 0
	global_load_dwordx2 v[0:1], v3, s[12:13] offset:16
	s_mov_b64 s[18:19], exec
	v_mbcnt_lo_u32_b32 v2, s18, 0
	v_mbcnt_hi_u32_b32 v2, s19, v2
	v_cmp_eq_u32_e32 vcc, 0, v2
	s_and_saveexec_b64 s[20:21], vcc
	s_cbranch_execz .LBB0_127
; %bb.126:
	s_bcnt1_i32_b64 s18, s[18:19]
	v_mov_b32_e32 v2, s18
	s_waitcnt vmcnt(0)
	global_atomic_add_x2 v[0:1], v[2:3], off offset:8
.LBB0_127:
	s_or_b64 exec, exec, s[20:21]
	s_waitcnt vmcnt(0)
	global_load_dwordx2 v[2:3], v[0:1], off offset:16
	s_waitcnt vmcnt(0)
	v_cmp_eq_u64_e32 vcc, 0, v[2:3]
	s_cbranch_vccnz .LBB0_129
; %bb.128:
	global_load_dword v0, v[0:1], off offset:24
	v_mov_b32_e32 v1, 0
	s_waitcnt vmcnt(0)
	v_readfirstlane_b32 s18, v0
	s_and_b32 m0, s18, 0xffffff
	global_store_dwordx2 v[2:3], v[0:1], off
	s_sendmsg sendmsg(MSG_INTERRUPT)
.LBB0_129:
	s_or_b64 exec, exec, s[16:17]
	s_branch .LBB0_133
.LBB0_130:                              ;   in Loop: Header=BB0_133 Depth=1
	s_or_b64 exec, exec, s[16:17]
	v_readfirstlane_b32 s16, v0
	s_cmp_eq_u32 s16, 0
	s_cbranch_scc1 .LBB0_132
; %bb.131:                              ;   in Loop: Header=BB0_133 Depth=1
	s_sleep 1
	s_cbranch_execnz .LBB0_133
	s_branch .LBB0_135
.LBB0_132:
	s_branch .LBB0_135
.LBB0_133:                              ; =>This Inner Loop Header: Depth=1
	v_mov_b32_e32 v0, 1
	s_and_saveexec_b64 s[16:17], s[6:7]
	s_cbranch_execz .LBB0_130
; %bb.134:                              ;   in Loop: Header=BB0_133 Depth=1
	global_load_dword v0, v[8:9], off offset:20 glc
	s_waitcnt vmcnt(0)
	buffer_wbinvl1_vol
	v_and_b32_e32 v0, 1, v0
	s_branch .LBB0_130
.LBB0_135:
	global_load_dwordx2 v[2:3], v[6:7], off
	s_and_saveexec_b64 s[16:17], s[6:7]
	s_cbranch_execz .LBB0_138
; %bb.136:
	v_mov_b32_e32 v8, 0
	global_load_dwordx2 v[0:1], v8, s[12:13] offset:40
	global_load_dwordx2 v[11:12], v8, s[12:13] offset:24 glc
	global_load_dwordx2 v[4:5], v8, s[12:13]
	s_waitcnt vmcnt(2)
	v_readfirstlane_b32 s18, v0
	v_readfirstlane_b32 s19, v1
	s_add_u32 s20, s18, 1
	s_addc_u32 s21, s19, 0
	s_add_u32 s6, s20, s14
	s_addc_u32 s7, s21, s15
	s_cmp_eq_u64 s[6:7], 0
	s_cselect_b32 s7, s21, s7
	s_cselect_b32 s6, s20, s6
	s_and_b64 s[14:15], s[6:7], s[18:19]
	s_mul_i32 s15, s15, 24
	s_mul_hi_u32 s18, s14, 24
	s_mul_i32 s14, s14, 24
	s_add_i32 s15, s18, s15
	v_mov_b32_e32 v1, s15
	s_waitcnt vmcnt(0)
	v_add_co_u32_e32 v0, vcc, s14, v4
	v_addc_co_u32_e32 v1, vcc, v5, v1, vcc
	v_mov_b32_e32 v9, s6
	global_store_dwordx2 v[0:1], v[11:12], off
	v_mov_b32_e32 v10, s7
	s_waitcnt vmcnt(0)
	global_atomic_cmpswap_x2 v[6:7], v8, v[9:12], s[12:13] offset:24 glc
	s_mov_b64 s[14:15], 0
	s_waitcnt vmcnt(0)
	v_cmp_ne_u64_e32 vcc, v[6:7], v[11:12]
	s_and_b64 exec, exec, vcc
	s_cbranch_execz .LBB0_138
.LBB0_137:                              ; =>This Inner Loop Header: Depth=1
	s_sleep 1
	global_store_dwordx2 v[0:1], v[6:7], off
	v_mov_b32_e32 v4, s6
	v_mov_b32_e32 v5, s7
	s_waitcnt vmcnt(0)
	global_atomic_cmpswap_x2 v[4:5], v8, v[4:7], s[12:13] offset:24 glc
	s_waitcnt vmcnt(0)
	v_cmp_eq_u64_e32 vcc, v[4:5], v[6:7]
	v_mov_b32_e32 v7, v5
	s_or_b64 s[14:15], vcc, s[14:15]
	v_mov_b32_e32 v6, v4
	s_andn2_b64 exec, exec, s[14:15]
	s_cbranch_execnz .LBB0_137
.LBB0_138:
	s_or_b64 exec, exec, s[16:17]
.LBB0_139:
	v_readfirstlane_b32 s6, v31
	s_waitcnt vmcnt(0)
	v_mov_b32_e32 v0, 0
	v_mov_b32_e32 v1, 0
	v_cmp_eq_u32_e64 s[6:7], s6, v31
	s_and_saveexec_b64 s[14:15], s[6:7]
	s_cbranch_execz .LBB0_145
; %bb.140:
	v_mov_b32_e32 v4, 0
	global_load_dwordx2 v[7:8], v4, s[12:13] offset:24 glc
	s_waitcnt vmcnt(0)
	buffer_wbinvl1_vol
	global_load_dwordx2 v[0:1], v4, s[12:13] offset:40
	global_load_dwordx2 v[5:6], v4, s[12:13]
	s_waitcnt vmcnt(1)
	v_and_b32_e32 v0, v0, v7
	v_and_b32_e32 v1, v1, v8
	v_mul_lo_u32 v1, v1, 24
	v_mul_hi_u32 v9, v0, 24
	v_mul_lo_u32 v0, v0, 24
	v_add_u32_e32 v1, v9, v1
	s_waitcnt vmcnt(0)
	v_add_co_u32_e32 v0, vcc, v5, v0
	v_addc_co_u32_e32 v1, vcc, v6, v1, vcc
	global_load_dwordx2 v[5:6], v[0:1], off glc
	s_waitcnt vmcnt(0)
	global_atomic_cmpswap_x2 v[0:1], v4, v[5:8], s[12:13] offset:24 glc
	s_waitcnt vmcnt(0)
	buffer_wbinvl1_vol
	v_cmp_ne_u64_e32 vcc, v[0:1], v[7:8]
	s_and_saveexec_b64 s[16:17], vcc
	s_cbranch_execz .LBB0_144
; %bb.141:
	s_mov_b64 s[18:19], 0
.LBB0_142:                              ; =>This Inner Loop Header: Depth=1
	s_sleep 1
	global_load_dwordx2 v[5:6], v4, s[12:13] offset:40
	global_load_dwordx2 v[9:10], v4, s[12:13]
	v_mov_b32_e32 v8, v1
	v_mov_b32_e32 v7, v0
	s_waitcnt vmcnt(1)
	v_and_b32_e32 v0, v5, v7
	s_waitcnt vmcnt(0)
	v_mad_u64_u32 v[0:1], s[20:21], v0, 24, v[9:10]
	v_and_b32_e32 v5, v6, v8
	v_mad_u64_u32 v[5:6], s[20:21], v5, 24, v[1:2]
	v_mov_b32_e32 v1, v5
	global_load_dwordx2 v[5:6], v[0:1], off glc
	s_waitcnt vmcnt(0)
	global_atomic_cmpswap_x2 v[0:1], v4, v[5:8], s[12:13] offset:24 glc
	s_waitcnt vmcnt(0)
	buffer_wbinvl1_vol
	v_cmp_eq_u64_e32 vcc, v[0:1], v[7:8]
	s_or_b64 s[18:19], vcc, s[18:19]
	s_andn2_b64 exec, exec, s[18:19]
	s_cbranch_execnz .LBB0_142
; %bb.143:
	s_or_b64 exec, exec, s[18:19]
.LBB0_144:
	s_or_b64 exec, exec, s[16:17]
.LBB0_145:
	s_or_b64 exec, exec, s[14:15]
	v_mov_b32_e32 v5, 0
	global_load_dwordx2 v[10:11], v5, s[12:13] offset:40
	global_load_dwordx4 v[6:9], v5, s[12:13]
	v_readfirstlane_b32 s15, v1
	v_readfirstlane_b32 s14, v0
	s_mov_b64 s[16:17], exec
	s_waitcnt vmcnt(1)
	v_readfirstlane_b32 s18, v10
	v_readfirstlane_b32 s19, v11
	s_and_b64 s[18:19], s[18:19], s[14:15]
	s_mul_i32 s20, s19, 24
	s_mul_hi_u32 s21, s18, 24
	s_mul_i32 s22, s18, 24
	s_add_i32 s20, s21, s20
	v_mov_b32_e32 v0, s20
	s_waitcnt vmcnt(0)
	v_add_co_u32_e32 v10, vcc, s22, v6
	v_addc_co_u32_e32 v11, vcc, v7, v0, vcc
	s_and_saveexec_b64 s[20:21], s[6:7]
	s_cbranch_execz .LBB0_147
; %bb.146:
	v_mov_b32_e32 v12, s16
	v_mov_b32_e32 v13, s17
	;; [unrolled: 1-line block ×4, first 2 shown]
	global_store_dwordx4 v[10:11], v[12:15], off offset:8
.LBB0_147:
	s_or_b64 exec, exec, s[20:21]
	s_lshl_b64 s[16:17], s[18:19], 12
	v_mov_b32_e32 v0, s17
	v_add_co_u32_e32 v1, vcc, s16, v8
	s_mul_i32 s16, s28, s29
	s_and_b32 s17, 0xffff, s30
	s_mul_i32 s16, s16, s17
	v_addc_co_u32_e32 v0, vcc, v9, v0, vcc
	s_lshr_b32 s17, s16, 1
	s_movk_i32 s18, 0xff1f
	s_mov_b32 s16, 0
	v_and_or_b32 v2, v2, s18, 32
	v_add_co_u32_e32 v8, vcc, v1, v30
	v_mov_b32_e32 v4, s17
	v_readfirstlane_b32 s20, v1
	v_readfirstlane_b32 s21, v0
	v_addc_co_u32_e32 v9, vcc, 0, v0, vcc
	s_mov_b32 s17, s16
	s_mov_b32 s18, s16
	;; [unrolled: 1-line block ×3, first 2 shown]
	s_nop 0
	global_store_dwordx4 v30, v[2:5], s[20:21]
	v_mov_b32_e32 v0, s16
	v_mov_b32_e32 v1, s17
	;; [unrolled: 1-line block ×4, first 2 shown]
	global_store_dwordx4 v30, v[0:3], s[20:21] offset:16
	global_store_dwordx4 v30, v[0:3], s[20:21] offset:32
	;; [unrolled: 1-line block ×3, first 2 shown]
	s_and_saveexec_b64 s[16:17], s[6:7]
	s_cbranch_execz .LBB0_155
; %bb.148:
	v_mov_b32_e32 v12, 0
	global_load_dwordx2 v[15:16], v12, s[12:13] offset:32 glc
	global_load_dwordx2 v[0:1], v12, s[12:13] offset:40
	v_mov_b32_e32 v13, s14
	v_mov_b32_e32 v14, s15
	s_waitcnt vmcnt(0)
	v_readfirstlane_b32 s18, v0
	v_readfirstlane_b32 s19, v1
	s_and_b64 s[18:19], s[18:19], s[14:15]
	s_mul_i32 s19, s19, 24
	s_mul_hi_u32 s20, s18, 24
	s_mul_i32 s18, s18, 24
	s_add_i32 s19, s20, s19
	v_mov_b32_e32 v0, s19
	v_add_co_u32_e32 v4, vcc, s18, v6
	v_addc_co_u32_e32 v5, vcc, v7, v0, vcc
	global_store_dwordx2 v[4:5], v[15:16], off
	s_waitcnt vmcnt(0)
	global_atomic_cmpswap_x2 v[2:3], v12, v[13:16], s[12:13] offset:32 glc
	s_waitcnt vmcnt(0)
	v_cmp_ne_u64_e32 vcc, v[2:3], v[15:16]
	s_and_saveexec_b64 s[18:19], vcc
	s_cbranch_execz .LBB0_151
; %bb.149:
	s_mov_b64 s[20:21], 0
.LBB0_150:                              ; =>This Inner Loop Header: Depth=1
	s_sleep 1
	global_store_dwordx2 v[4:5], v[2:3], off
	v_mov_b32_e32 v0, s14
	v_mov_b32_e32 v1, s15
	s_waitcnt vmcnt(0)
	global_atomic_cmpswap_x2 v[0:1], v12, v[0:3], s[12:13] offset:32 glc
	s_waitcnt vmcnt(0)
	v_cmp_eq_u64_e32 vcc, v[0:1], v[2:3]
	v_mov_b32_e32 v3, v1
	s_or_b64 s[20:21], vcc, s[20:21]
	v_mov_b32_e32 v2, v0
	s_andn2_b64 exec, exec, s[20:21]
	s_cbranch_execnz .LBB0_150
.LBB0_151:
	s_or_b64 exec, exec, s[18:19]
	v_mov_b32_e32 v3, 0
	global_load_dwordx2 v[0:1], v3, s[12:13] offset:16
	s_mov_b64 s[18:19], exec
	v_mbcnt_lo_u32_b32 v2, s18, 0
	v_mbcnt_hi_u32_b32 v2, s19, v2
	v_cmp_eq_u32_e32 vcc, 0, v2
	s_and_saveexec_b64 s[20:21], vcc
	s_cbranch_execz .LBB0_153
; %bb.152:
	s_bcnt1_i32_b64 s18, s[18:19]
	v_mov_b32_e32 v2, s18
	s_waitcnt vmcnt(0)
	global_atomic_add_x2 v[0:1], v[2:3], off offset:8
.LBB0_153:
	s_or_b64 exec, exec, s[20:21]
	s_waitcnt vmcnt(0)
	global_load_dwordx2 v[2:3], v[0:1], off offset:16
	s_waitcnt vmcnt(0)
	v_cmp_eq_u64_e32 vcc, 0, v[2:3]
	s_cbranch_vccnz .LBB0_155
; %bb.154:
	global_load_dword v0, v[0:1], off offset:24
	v_mov_b32_e32 v1, 0
	s_waitcnt vmcnt(0)
	v_readfirstlane_b32 s18, v0
	s_and_b32 m0, s18, 0xffffff
	global_store_dwordx2 v[2:3], v[0:1], off
	s_sendmsg sendmsg(MSG_INTERRUPT)
.LBB0_155:
	s_or_b64 exec, exec, s[16:17]
	s_branch .LBB0_159
.LBB0_156:                              ;   in Loop: Header=BB0_159 Depth=1
	s_or_b64 exec, exec, s[16:17]
	v_readfirstlane_b32 s16, v0
	s_cmp_eq_u32 s16, 0
	s_cbranch_scc1 .LBB0_158
; %bb.157:                              ;   in Loop: Header=BB0_159 Depth=1
	s_sleep 1
	s_cbranch_execnz .LBB0_159
	s_branch .LBB0_161
.LBB0_158:
	s_branch .LBB0_161
.LBB0_159:                              ; =>This Inner Loop Header: Depth=1
	v_mov_b32_e32 v0, 1
	s_and_saveexec_b64 s[16:17], s[6:7]
	s_cbranch_execz .LBB0_156
; %bb.160:                              ;   in Loop: Header=BB0_159 Depth=1
	global_load_dword v0, v[10:11], off offset:20 glc
	s_waitcnt vmcnt(0)
	buffer_wbinvl1_vol
	v_and_b32_e32 v0, 1, v0
	s_branch .LBB0_156
.LBB0_161:
	global_load_dwordx2 v[0:1], v[8:9], off
	s_and_saveexec_b64 s[16:17], s[6:7]
	s_cbranch_execz .LBB0_164
; %bb.162:
	v_mov_b32_e32 v8, 0
	global_load_dwordx2 v[2:3], v8, s[12:13] offset:40
	global_load_dwordx2 v[11:12], v8, s[12:13] offset:24 glc
	global_load_dwordx2 v[4:5], v8, s[12:13]
	s_waitcnt vmcnt(2)
	v_readfirstlane_b32 s18, v2
	v_readfirstlane_b32 s19, v3
	s_add_u32 s20, s18, 1
	s_addc_u32 s21, s19, 0
	s_add_u32 s6, s20, s14
	s_addc_u32 s7, s21, s15
	s_cmp_eq_u64 s[6:7], 0
	s_cselect_b32 s7, s21, s7
	s_cselect_b32 s6, s20, s6
	s_and_b64 s[14:15], s[6:7], s[18:19]
	s_mul_i32 s15, s15, 24
	s_mul_hi_u32 s18, s14, 24
	s_mul_i32 s14, s14, 24
	s_add_i32 s15, s18, s15
	v_mov_b32_e32 v2, s15
	s_waitcnt vmcnt(0)
	v_add_co_u32_e32 v6, vcc, s14, v4
	v_addc_co_u32_e32 v7, vcc, v5, v2, vcc
	v_mov_b32_e32 v9, s6
	global_store_dwordx2 v[6:7], v[11:12], off
	v_mov_b32_e32 v10, s7
	s_waitcnt vmcnt(0)
	global_atomic_cmpswap_x2 v[4:5], v8, v[9:12], s[12:13] offset:24 glc
	s_mov_b64 s[14:15], 0
	s_waitcnt vmcnt(0)
	v_cmp_ne_u64_e32 vcc, v[4:5], v[11:12]
	s_and_b64 exec, exec, vcc
	s_cbranch_execz .LBB0_164
.LBB0_163:                              ; =>This Inner Loop Header: Depth=1
	s_sleep 1
	global_store_dwordx2 v[6:7], v[4:5], off
	v_mov_b32_e32 v2, s6
	v_mov_b32_e32 v3, s7
	s_waitcnt vmcnt(0)
	global_atomic_cmpswap_x2 v[2:3], v8, v[2:5], s[12:13] offset:24 glc
	s_waitcnt vmcnt(0)
	v_cmp_eq_u64_e32 vcc, v[2:3], v[4:5]
	v_mov_b32_e32 v5, v3
	s_or_b64 s[14:15], vcc, s[14:15]
	v_mov_b32_e32 v4, v2
	s_andn2_b64 exec, exec, s[14:15]
	s_cbranch_execnz .LBB0_163
.LBB0_164:
	s_or_b64 exec, exec, s[16:17]
	v_readfirstlane_b32 s6, v31
	v_mov_b32_e32 v8, 0
	v_mov_b32_e32 v9, 0
	v_cmp_eq_u32_e64 s[6:7], s6, v31
	s_and_saveexec_b64 s[14:15], s[6:7]
	s_cbranch_execz .LBB0_170
; %bb.165:
	v_mov_b32_e32 v2, 0
	global_load_dwordx2 v[5:6], v2, s[12:13] offset:24 glc
	s_waitcnt vmcnt(0)
	buffer_wbinvl1_vol
	global_load_dwordx2 v[3:4], v2, s[12:13] offset:40
	global_load_dwordx2 v[7:8], v2, s[12:13]
	s_waitcnt vmcnt(1)
	v_and_b32_e32 v3, v3, v5
	v_and_b32_e32 v4, v4, v6
	v_mul_lo_u32 v4, v4, 24
	v_mul_hi_u32 v9, v3, 24
	v_mul_lo_u32 v3, v3, 24
	v_add_u32_e32 v4, v9, v4
	s_waitcnt vmcnt(0)
	v_add_co_u32_e32 v3, vcc, v7, v3
	v_addc_co_u32_e32 v4, vcc, v8, v4, vcc
	global_load_dwordx2 v[3:4], v[3:4], off glc
	s_waitcnt vmcnt(0)
	global_atomic_cmpswap_x2 v[8:9], v2, v[3:6], s[12:13] offset:24 glc
	s_waitcnt vmcnt(0)
	buffer_wbinvl1_vol
	v_cmp_ne_u64_e32 vcc, v[8:9], v[5:6]
	s_and_saveexec_b64 s[16:17], vcc
	s_cbranch_execz .LBB0_169
; %bb.166:
	s_mov_b64 s[18:19], 0
.LBB0_167:                              ; =>This Inner Loop Header: Depth=1
	s_sleep 1
	global_load_dwordx2 v[3:4], v2, s[12:13] offset:40
	global_load_dwordx2 v[10:11], v2, s[12:13]
	v_mov_b32_e32 v5, v8
	v_mov_b32_e32 v6, v9
	s_waitcnt vmcnt(1)
	v_and_b32_e32 v3, v3, v5
	s_waitcnt vmcnt(0)
	v_mad_u64_u32 v[7:8], s[20:21], v3, 24, v[10:11]
	v_and_b32_e32 v4, v4, v6
	v_mov_b32_e32 v3, v8
	v_mad_u64_u32 v[3:4], s[20:21], v4, 24, v[3:4]
	v_mov_b32_e32 v8, v3
	global_load_dwordx2 v[3:4], v[7:8], off glc
	s_waitcnt vmcnt(0)
	global_atomic_cmpswap_x2 v[8:9], v2, v[3:6], s[12:13] offset:24 glc
	s_waitcnt vmcnt(0)
	buffer_wbinvl1_vol
	v_cmp_eq_u64_e32 vcc, v[8:9], v[5:6]
	s_or_b64 s[18:19], vcc, s[18:19]
	s_andn2_b64 exec, exec, s[18:19]
	s_cbranch_execnz .LBB0_167
; %bb.168:
	s_or_b64 exec, exec, s[18:19]
.LBB0_169:
	s_or_b64 exec, exec, s[16:17]
.LBB0_170:
	s_or_b64 exec, exec, s[14:15]
	v_mov_b32_e32 v3, 0
	global_load_dwordx2 v[10:11], v3, s[12:13] offset:40
	global_load_dwordx4 v[4:7], v3, s[12:13]
	v_readfirstlane_b32 s15, v9
	v_readfirstlane_b32 s14, v8
	s_mov_b64 s[16:17], exec
	s_waitcnt vmcnt(1)
	v_readfirstlane_b32 s18, v10
	v_readfirstlane_b32 s19, v11
	s_and_b64 s[18:19], s[18:19], s[14:15]
	s_mul_i32 s20, s19, 24
	s_mul_hi_u32 s21, s18, 24
	s_mul_i32 s22, s18, 24
	s_add_i32 s20, s21, s20
	v_mov_b32_e32 v2, s20
	s_waitcnt vmcnt(0)
	v_add_co_u32_e32 v8, vcc, s22, v4
	v_addc_co_u32_e32 v9, vcc, v5, v2, vcc
	s_and_saveexec_b64 s[20:21], s[6:7]
	s_cbranch_execz .LBB0_172
; %bb.171:
	v_mov_b32_e32 v10, s16
	v_mov_b32_e32 v11, s17
	;; [unrolled: 1-line block ×4, first 2 shown]
	global_store_dwordx4 v[8:9], v[10:13], off offset:8
.LBB0_172:
	s_or_b64 exec, exec, s[20:21]
	s_lshl_b64 s[16:17], s[18:19], 12
	v_mov_b32_e32 v2, s17
	v_add_co_u32_e32 v6, vcc, s16, v6
	v_addc_co_u32_e32 v7, vcc, v7, v2, vcc
	s_movk_i32 s16, 0xff1d
	v_and_or_b32 v0, v0, s16, 34
	s_mov_b32 s16, 0
	v_mov_b32_e32 v2, 2
	v_readfirstlane_b32 s20, v6
	v_readfirstlane_b32 s21, v7
	s_mov_b32 s17, s16
	s_mov_b32 s18, s16
	;; [unrolled: 1-line block ×3, first 2 shown]
	s_nop 1
	global_store_dwordx4 v30, v[0:3], s[20:21]
	s_nop 0
	v_mov_b32_e32 v0, s16
	v_mov_b32_e32 v1, s17
	v_mov_b32_e32 v2, s18
	v_mov_b32_e32 v3, s19
	global_store_dwordx4 v30, v[0:3], s[20:21] offset:16
	global_store_dwordx4 v30, v[0:3], s[20:21] offset:32
	;; [unrolled: 1-line block ×3, first 2 shown]
	s_and_saveexec_b64 s[16:17], s[6:7]
	s_cbranch_execz .LBB0_180
; %bb.173:
	v_mov_b32_e32 v6, 0
	global_load_dwordx2 v[12:13], v6, s[12:13] offset:32 glc
	global_load_dwordx2 v[0:1], v6, s[12:13] offset:40
	v_mov_b32_e32 v10, s14
	v_mov_b32_e32 v11, s15
	s_waitcnt vmcnt(0)
	v_readfirstlane_b32 s18, v0
	v_readfirstlane_b32 s19, v1
	s_and_b64 s[18:19], s[18:19], s[14:15]
	s_mul_i32 s19, s19, 24
	s_mul_hi_u32 s20, s18, 24
	s_mul_i32 s18, s18, 24
	s_add_i32 s19, s20, s19
	v_mov_b32_e32 v0, s19
	v_add_co_u32_e32 v4, vcc, s18, v4
	v_addc_co_u32_e32 v5, vcc, v5, v0, vcc
	global_store_dwordx2 v[4:5], v[12:13], off
	s_waitcnt vmcnt(0)
	global_atomic_cmpswap_x2 v[2:3], v6, v[10:13], s[12:13] offset:32 glc
	s_waitcnt vmcnt(0)
	v_cmp_ne_u64_e32 vcc, v[2:3], v[12:13]
	s_and_saveexec_b64 s[18:19], vcc
	s_cbranch_execz .LBB0_176
; %bb.174:
	s_mov_b64 s[20:21], 0
.LBB0_175:                              ; =>This Inner Loop Header: Depth=1
	s_sleep 1
	global_store_dwordx2 v[4:5], v[2:3], off
	v_mov_b32_e32 v0, s14
	v_mov_b32_e32 v1, s15
	s_waitcnt vmcnt(0)
	global_atomic_cmpswap_x2 v[0:1], v6, v[0:3], s[12:13] offset:32 glc
	s_waitcnt vmcnt(0)
	v_cmp_eq_u64_e32 vcc, v[0:1], v[2:3]
	v_mov_b32_e32 v3, v1
	s_or_b64 s[20:21], vcc, s[20:21]
	v_mov_b32_e32 v2, v0
	s_andn2_b64 exec, exec, s[20:21]
	s_cbranch_execnz .LBB0_175
.LBB0_176:
	s_or_b64 exec, exec, s[18:19]
	v_mov_b32_e32 v3, 0
	global_load_dwordx2 v[0:1], v3, s[12:13] offset:16
	s_mov_b64 s[18:19], exec
	v_mbcnt_lo_u32_b32 v2, s18, 0
	v_mbcnt_hi_u32_b32 v2, s19, v2
	v_cmp_eq_u32_e32 vcc, 0, v2
	s_and_saveexec_b64 s[20:21], vcc
	s_cbranch_execz .LBB0_178
; %bb.177:
	s_bcnt1_i32_b64 s18, s[18:19]
	v_mov_b32_e32 v2, s18
	s_waitcnt vmcnt(0)
	global_atomic_add_x2 v[0:1], v[2:3], off offset:8
.LBB0_178:
	s_or_b64 exec, exec, s[20:21]
	s_waitcnt vmcnt(0)
	global_load_dwordx2 v[2:3], v[0:1], off offset:16
	s_waitcnt vmcnt(0)
	v_cmp_eq_u64_e32 vcc, 0, v[2:3]
	s_cbranch_vccnz .LBB0_180
; %bb.179:
	global_load_dword v0, v[0:1], off offset:24
	v_mov_b32_e32 v1, 0
	s_waitcnt vmcnt(0)
	v_readfirstlane_b32 s18, v0
	s_and_b32 m0, s18, 0xffffff
	global_store_dwordx2 v[2:3], v[0:1], off
	s_sendmsg sendmsg(MSG_INTERRUPT)
.LBB0_180:
	s_or_b64 exec, exec, s[16:17]
	s_branch .LBB0_184
.LBB0_181:                              ;   in Loop: Header=BB0_184 Depth=1
	s_or_b64 exec, exec, s[16:17]
	v_readfirstlane_b32 s16, v0
	s_cmp_eq_u32 s16, 0
	s_cbranch_scc1 .LBB0_183
; %bb.182:                              ;   in Loop: Header=BB0_184 Depth=1
	s_sleep 1
	s_cbranch_execnz .LBB0_184
	s_branch .LBB0_186
.LBB0_183:
	s_branch .LBB0_186
.LBB0_184:                              ; =>This Inner Loop Header: Depth=1
	v_mov_b32_e32 v0, 1
	s_and_saveexec_b64 s[16:17], s[6:7]
	s_cbranch_execz .LBB0_181
; %bb.185:                              ;   in Loop: Header=BB0_184 Depth=1
	global_load_dword v0, v[8:9], off offset:20 glc
	s_waitcnt vmcnt(0)
	buffer_wbinvl1_vol
	v_and_b32_e32 v0, 1, v0
	s_branch .LBB0_181
.LBB0_186:
	s_and_b64 exec, exec, s[6:7]
	s_cbranch_execz .LBB0_189
; %bb.187:
	v_mov_b32_e32 v6, 0
	global_load_dwordx2 v[0:1], v6, s[12:13] offset:40
	global_load_dwordx2 v[9:10], v6, s[12:13] offset:24 glc
	global_load_dwordx2 v[2:3], v6, s[12:13]
	s_waitcnt vmcnt(2)
	v_readfirstlane_b32 s16, v0
	v_readfirstlane_b32 s17, v1
	s_add_u32 s18, s16, 1
	s_addc_u32 s19, s17, 0
	s_add_u32 s6, s18, s14
	s_addc_u32 s7, s19, s15
	s_cmp_eq_u64 s[6:7], 0
	s_cselect_b32 s7, s19, s7
	s_cselect_b32 s6, s18, s6
	s_and_b64 s[14:15], s[6:7], s[16:17]
	s_mul_i32 s15, s15, 24
	s_mul_hi_u32 s16, s14, 24
	s_mul_i32 s14, s14, 24
	s_add_i32 s15, s16, s15
	v_mov_b32_e32 v0, s15
	s_waitcnt vmcnt(0)
	v_add_co_u32_e32 v4, vcc, s14, v2
	v_addc_co_u32_e32 v5, vcc, v3, v0, vcc
	v_mov_b32_e32 v7, s6
	global_store_dwordx2 v[4:5], v[9:10], off
	v_mov_b32_e32 v8, s7
	s_waitcnt vmcnt(0)
	global_atomic_cmpswap_x2 v[2:3], v6, v[7:10], s[12:13] offset:24 glc
	s_mov_b64 s[14:15], 0
	s_waitcnt vmcnt(0)
	v_cmp_ne_u64_e32 vcc, v[2:3], v[9:10]
	s_and_b64 exec, exec, vcc
	s_cbranch_execz .LBB0_189
.LBB0_188:                              ; =>This Inner Loop Header: Depth=1
	s_sleep 1
	global_store_dwordx2 v[4:5], v[2:3], off
	v_mov_b32_e32 v0, s6
	v_mov_b32_e32 v1, s7
	s_waitcnt vmcnt(0)
	global_atomic_cmpswap_x2 v[0:1], v6, v[0:3], s[12:13] offset:24 glc
	s_waitcnt vmcnt(0)
	v_cmp_eq_u64_e32 vcc, v[0:1], v[2:3]
	v_mov_b32_e32 v3, v1
	s_or_b64 s[14:15], vcc, s[14:15]
	v_mov_b32_e32 v2, v0
	s_andn2_b64 exec, exec, s[14:15]
	s_cbranch_execnz .LBB0_188
.LBB0_189:
	s_or_b64 exec, exec, s[10:11]
	s_waitcnt vmcnt(0) lgkmcnt(0)
	s_barrier
	s_load_dword s12, s[4:5], 0x8
	s_load_dwordx2 s[6:7], s[4:5], 0x0
	v_and_b32_e32 v0, 1, v29
	s_waitcnt lgkmcnt(0)
	s_cmp_lt_i32 s12, 1
	s_cbranch_scc1 .LBB0_195
; %bb.190:
	s_cmp_lt_i32 s12, 2
	s_cbranch_scc1 .LBB0_196
; %bb.191:
	s_cmp_eq_u32 s12, 2
                                        ; implicit-def: $vgpr2
	s_cbranch_scc0 .LBB0_394
; %bb.192:
	s_mov_b64 s[4:5], src_private_base
	s_mov_b32 s4, 0
	v_mov_b32_e32 v1, s4
	v_mov_b32_e32 v2, s5
	flat_store_dword v[1:2], v0
	s_waitcnt vmcnt(0)
	flat_load_dword v1, v[1:2] glc
	s_waitcnt vmcnt(0)
	v_mbcnt_lo_u32_b32 v2, -1, 0
	v_mbcnt_hi_u32_b32 v2, -1, v2
	v_add_u32_e32 v3, -1, v2
	v_and_b32_e32 v4, 0x7e, v2
	v_cmp_lt_i32_e32 vcc, v3, v4
	v_cndmask_b32_e32 v2, v3, v2, vcc
	v_lshlrev_b32_e32 v2, 2, v2
	v_cmp_ne_u32_e32 vcc, 0, v0
	s_waitcnt lgkmcnt(0)
	ds_bpermute_b32 v1, v2, v1
	s_and_saveexec_b64 s[10:11], vcc
	s_cbranch_execz .LBB0_194
; %bb.193:
	v_mov_b32_e32 v2, s4
	v_mov_b32_e32 v3, s5
	flat_load_dword v4, v[2:3] glc
	s_waitcnt vmcnt(0) lgkmcnt(0)
	v_add_u32_e32 v1, v4, v1
	flat_store_dword v[2:3], v1
	s_waitcnt vmcnt(0)
.LBB0_194:
	s_or_b64 exec, exec, s[10:11]
	s_waitcnt lgkmcnt(0)
	v_mov_b32_e32 v1, s4
	v_mov_b32_e32 v2, s5
	flat_load_dword v2, v[1:2] glc
	s_waitcnt vmcnt(0)
	v_mov_b32_e32 v30, 0
	v_lshlrev_b64 v[3:4], 2, v[29:30]
	v_mov_b32_e32 v1, s7
	v_add_co_u32_e32 v3, vcc, s6, v3
	v_addc_co_u32_e32 v4, vcc, v1, v4, vcc
	s_waitcnt lgkmcnt(0)
	global_store_dword v[3:4], v2, off
	s_cbranch_execz .LBB0_197
	s_branch .LBB0_198
.LBB0_195:
                                        ; implicit-def: $vgpr2
	s_branch .LBB0_199
.LBB0_196:
                                        ; implicit-def: $vgpr2
.LBB0_197:
	v_mbcnt_lo_u32_b32 v1, -1, 0
	v_mbcnt_hi_u32_b32 v1, -1, v1
	v_and_b32_e32 v2, 0x7e, v1
	v_add_u32_e32 v2, 2, v2
	v_xor_b32_e32 v3, 1, v1
	v_cmp_lt_i32_e32 vcc, v3, v2
	v_cndmask_b32_e32 v1, v1, v3, vcc
	v_lshlrev_b32_e32 v1, 2, v1
	ds_bpermute_b32 v1, v1, v0
	v_cmp_eq_u32_e32 vcc, 0, v0
	s_waitcnt lgkmcnt(0)
	v_cndmask_b32_e32 v2, -1, v1, vcc
.LBB0_198:
	s_cbranch_execnz .LBB0_203
.LBB0_199:
	s_cmp_lg_u32 s12, 0
                                        ; implicit-def: $vgpr2
	s_cbranch_scc1 .LBB0_203
; %bb.200:
	s_mov_b64 s[4:5], src_private_base
	s_mov_b32 s4, 4
	v_mov_b32_e32 v3, s4
	v_mov_b32_e32 v4, s5
	flat_store_dword v[3:4], v0
	s_waitcnt vmcnt(0)
	flat_load_dword v1, v[3:4] glc
	s_waitcnt vmcnt(0)
	flat_load_dword v5, v[3:4] glc
	s_waitcnt vmcnt(0)
	v_mbcnt_lo_u32_b32 v2, -1, 0
	v_mbcnt_hi_u32_b32 v2, -1, v2
	v_lshl_or_b32 v2, v2, 2, 4
	v_cmp_eq_u32_e32 vcc, 0, v0
	s_waitcnt lgkmcnt(0)
	ds_bpermute_b32 v1, v2, v1
	v_mov_b32_e32 v2, -1
	s_waitcnt lgkmcnt(0)
	v_add_u32_e32 v1, v5, v1
	flat_store_dword v[3:4], v1
	s_waitcnt vmcnt(0)
	s_and_saveexec_b64 s[10:11], vcc
	s_cbranch_execz .LBB0_202
; %bb.201:
	v_mov_b32_e32 v1, s4
	v_mov_b32_e32 v2, s5
	flat_load_dword v2, v[1:2] glc
	s_waitcnt vmcnt(0)
.LBB0_202:
	s_or_b64 exec, exec, s[10:11]
.LBB0_203:
	s_cmp_lg_u32 s12, 2
	v_cmp_eq_u32_e32 vcc, 0, v0
	s_cselect_b64 s[4:5], -1, 0
	s_and_b64 s[4:5], s[4:5], vcc
	s_and_saveexec_b64 s[10:11], s[4:5]
	s_cbranch_execz .LBB0_393
; %bb.204:
	s_load_dwordx2 s[8:9], s[8:9], 0x50
	v_mbcnt_lo_u32_b32 v0, -1, 0
	v_mbcnt_hi_u32_b32 v33, -1, v0
	v_readfirstlane_b32 s4, v33
	v_mov_b32_e32 v0, 0
	v_mov_b32_e32 v1, 0
	v_cmp_eq_u32_e64 s[4:5], s4, v33
	s_and_saveexec_b64 s[10:11], s[4:5]
	s_cbranch_execz .LBB0_210
; %bb.205:
	v_mov_b32_e32 v3, 0
	s_waitcnt lgkmcnt(0)
	global_load_dwordx2 v[6:7], v3, s[8:9] offset:24 glc
	s_waitcnt vmcnt(0)
	buffer_wbinvl1_vol
	global_load_dwordx2 v[0:1], v3, s[8:9] offset:40
	global_load_dwordx2 v[4:5], v3, s[8:9]
	s_waitcnt vmcnt(1)
	v_and_b32_e32 v0, v0, v6
	v_and_b32_e32 v1, v1, v7
	v_mul_lo_u32 v1, v1, 24
	v_mul_hi_u32 v8, v0, 24
	v_mul_lo_u32 v0, v0, 24
	v_add_u32_e32 v1, v8, v1
	s_waitcnt vmcnt(0)
	v_add_co_u32_e32 v0, vcc, v4, v0
	v_addc_co_u32_e32 v1, vcc, v5, v1, vcc
	global_load_dwordx2 v[4:5], v[0:1], off glc
	s_waitcnt vmcnt(0)
	global_atomic_cmpswap_x2 v[0:1], v3, v[4:7], s[8:9] offset:24 glc
	s_waitcnt vmcnt(0)
	buffer_wbinvl1_vol
	v_cmp_ne_u64_e32 vcc, v[0:1], v[6:7]
	s_and_saveexec_b64 s[12:13], vcc
	s_cbranch_execz .LBB0_209
; %bb.206:
	s_mov_b64 s[14:15], 0
.LBB0_207:                              ; =>This Inner Loop Header: Depth=1
	s_sleep 1
	global_load_dwordx2 v[4:5], v3, s[8:9] offset:40
	global_load_dwordx2 v[8:9], v3, s[8:9]
	v_mov_b32_e32 v7, v1
	v_mov_b32_e32 v6, v0
	s_waitcnt vmcnt(1)
	v_and_b32_e32 v0, v4, v6
	s_waitcnt vmcnt(0)
	v_mad_u64_u32 v[0:1], s[16:17], v0, 24, v[8:9]
	v_and_b32_e32 v4, v5, v7
	v_mad_u64_u32 v[4:5], s[16:17], v4, 24, v[1:2]
	v_mov_b32_e32 v1, v4
	global_load_dwordx2 v[4:5], v[0:1], off glc
	s_waitcnt vmcnt(0)
	global_atomic_cmpswap_x2 v[0:1], v3, v[4:7], s[8:9] offset:24 glc
	s_waitcnt vmcnt(0)
	buffer_wbinvl1_vol
	v_cmp_eq_u64_e32 vcc, v[0:1], v[6:7]
	s_or_b64 s[14:15], vcc, s[14:15]
	s_andn2_b64 exec, exec, s[14:15]
	s_cbranch_execnz .LBB0_207
; %bb.208:
	s_or_b64 exec, exec, s[14:15]
.LBB0_209:
	s_or_b64 exec, exec, s[12:13]
.LBB0_210:
	s_or_b64 exec, exec, s[10:11]
	v_mov_b32_e32 v7, 0
	s_waitcnt lgkmcnt(0)
	global_load_dwordx2 v[8:9], v7, s[8:9] offset:40
	global_load_dwordx4 v[3:6], v7, s[8:9]
	v_readfirstlane_b32 s11, v1
	v_readfirstlane_b32 s10, v0
	s_mov_b64 s[12:13], exec
	s_waitcnt vmcnt(1)
	v_readfirstlane_b32 s14, v8
	v_readfirstlane_b32 s15, v9
	s_and_b64 s[14:15], s[14:15], s[10:11]
	s_mul_i32 s16, s15, 24
	s_mul_hi_u32 s17, s14, 24
	s_mul_i32 s18, s14, 24
	s_add_i32 s16, s17, s16
	v_mov_b32_e32 v1, s16
	s_waitcnt vmcnt(0)
	v_add_co_u32_e32 v0, vcc, s18, v3
	v_addc_co_u32_e32 v1, vcc, v4, v1, vcc
	s_and_saveexec_b64 s[16:17], s[4:5]
	s_cbranch_execz .LBB0_212
; %bb.211:
	v_mov_b32_e32 v8, s12
	v_mov_b32_e32 v9, s13
	;; [unrolled: 1-line block ×4, first 2 shown]
	global_store_dwordx4 v[0:1], v[8:11], off offset:8
.LBB0_212:
	s_or_b64 exec, exec, s[16:17]
	s_lshl_b64 s[12:13], s[14:15], 12
	v_mov_b32_e32 v8, s13
	v_add_co_u32_e32 v5, vcc, s12, v5
	v_addc_co_u32_e32 v12, vcc, v6, v8, vcc
	v_lshlrev_b32_e32 v32, 6, v33
	s_mov_b32 s12, 0
	v_mov_b32_e32 v6, 33
	v_mov_b32_e32 v8, v7
	;; [unrolled: 1-line block ×3, first 2 shown]
	v_readfirstlane_b32 s16, v5
	v_readfirstlane_b32 s17, v12
	v_add_co_u32_e32 v10, vcc, v5, v32
	s_mov_b32 s13, s12
	s_mov_b32 s14, s12
	;; [unrolled: 1-line block ×3, first 2 shown]
	s_nop 0
	global_store_dwordx4 v32, v[6:9], s[16:17]
	v_mov_b32_e32 v5, s12
	v_addc_co_u32_e32 v11, vcc, 0, v12, vcc
	v_mov_b32_e32 v6, s13
	v_mov_b32_e32 v7, s14
	;; [unrolled: 1-line block ×3, first 2 shown]
	global_store_dwordx4 v32, v[5:8], s[16:17] offset:16
	global_store_dwordx4 v32, v[5:8], s[16:17] offset:32
	;; [unrolled: 1-line block ×3, first 2 shown]
	s_and_saveexec_b64 s[12:13], s[4:5]
	s_cbranch_execz .LBB0_220
; %bb.213:
	v_mov_b32_e32 v9, 0
	global_load_dwordx2 v[14:15], v9, s[8:9] offset:32 glc
	global_load_dwordx2 v[5:6], v9, s[8:9] offset:40
	v_mov_b32_e32 v12, s10
	v_mov_b32_e32 v13, s11
	s_waitcnt vmcnt(0)
	v_and_b32_e32 v5, s10, v5
	v_and_b32_e32 v6, s11, v6
	v_mul_lo_u32 v6, v6, 24
	v_mul_hi_u32 v7, v5, 24
	v_mul_lo_u32 v5, v5, 24
	v_add_u32_e32 v6, v7, v6
	v_add_co_u32_e32 v7, vcc, v3, v5
	v_addc_co_u32_e32 v8, vcc, v4, v6, vcc
	global_store_dwordx2 v[7:8], v[14:15], off
	s_waitcnt vmcnt(0)
	global_atomic_cmpswap_x2 v[5:6], v9, v[12:15], s[8:9] offset:32 glc
	s_waitcnt vmcnt(0)
	v_cmp_ne_u64_e32 vcc, v[5:6], v[14:15]
	s_and_saveexec_b64 s[14:15], vcc
	s_cbranch_execz .LBB0_216
; %bb.214:
	s_mov_b64 s[16:17], 0
.LBB0_215:                              ; =>This Inner Loop Header: Depth=1
	s_sleep 1
	global_store_dwordx2 v[7:8], v[5:6], off
	v_mov_b32_e32 v3, s10
	v_mov_b32_e32 v4, s11
	s_waitcnt vmcnt(0)
	global_atomic_cmpswap_x2 v[3:4], v9, v[3:6], s[8:9] offset:32 glc
	s_waitcnt vmcnt(0)
	v_cmp_eq_u64_e32 vcc, v[3:4], v[5:6]
	v_mov_b32_e32 v6, v4
	s_or_b64 s[16:17], vcc, s[16:17]
	v_mov_b32_e32 v5, v3
	s_andn2_b64 exec, exec, s[16:17]
	s_cbranch_execnz .LBB0_215
.LBB0_216:
	s_or_b64 exec, exec, s[14:15]
	v_mov_b32_e32 v6, 0
	global_load_dwordx2 v[3:4], v6, s[8:9] offset:16
	s_mov_b64 s[14:15], exec
	v_mbcnt_lo_u32_b32 v5, s14, 0
	v_mbcnt_hi_u32_b32 v5, s15, v5
	v_cmp_eq_u32_e32 vcc, 0, v5
	s_and_saveexec_b64 s[16:17], vcc
	s_cbranch_execz .LBB0_218
; %bb.217:
	s_bcnt1_i32_b64 s14, s[14:15]
	v_mov_b32_e32 v5, s14
	s_waitcnt vmcnt(0)
	global_atomic_add_x2 v[3:4], v[5:6], off offset:8
.LBB0_218:
	s_or_b64 exec, exec, s[16:17]
	s_waitcnt vmcnt(0)
	global_load_dwordx2 v[5:6], v[3:4], off offset:16
	s_waitcnt vmcnt(0)
	v_cmp_eq_u64_e32 vcc, 0, v[5:6]
	s_cbranch_vccnz .LBB0_220
; %bb.219:
	global_load_dword v3, v[3:4], off offset:24
	v_mov_b32_e32 v4, 0
	s_waitcnt vmcnt(0)
	v_readfirstlane_b32 s14, v3
	s_and_b32 m0, s14, 0xffffff
	global_store_dwordx2 v[5:6], v[3:4], off
	s_sendmsg sendmsg(MSG_INTERRUPT)
.LBB0_220:
	s_or_b64 exec, exec, s[12:13]
	s_branch .LBB0_224
.LBB0_221:                              ;   in Loop: Header=BB0_224 Depth=1
	s_or_b64 exec, exec, s[12:13]
	v_readfirstlane_b32 s12, v3
	s_cmp_eq_u32 s12, 0
	s_cbranch_scc1 .LBB0_223
; %bb.222:                              ;   in Loop: Header=BB0_224 Depth=1
	s_sleep 1
	s_cbranch_execnz .LBB0_224
	s_branch .LBB0_226
.LBB0_223:
	s_branch .LBB0_226
.LBB0_224:                              ; =>This Inner Loop Header: Depth=1
	v_mov_b32_e32 v3, 1
	s_and_saveexec_b64 s[12:13], s[4:5]
	s_cbranch_execz .LBB0_221
; %bb.225:                              ;   in Loop: Header=BB0_224 Depth=1
	global_load_dword v3, v[0:1], off offset:20 glc
	s_waitcnt vmcnt(0)
	buffer_wbinvl1_vol
	v_and_b32_e32 v3, 1, v3
	s_branch .LBB0_221
.LBB0_226:
	global_load_dwordx2 v[3:4], v[10:11], off
	s_and_saveexec_b64 s[12:13], s[4:5]
	s_cbranch_execz .LBB0_229
; %bb.227:
	v_mov_b32_e32 v9, 0
	global_load_dwordx2 v[0:1], v9, s[8:9] offset:40
	global_load_dwordx2 v[12:13], v9, s[8:9] offset:24 glc
	global_load_dwordx2 v[5:6], v9, s[8:9]
	s_waitcnt vmcnt(2)
	v_readfirstlane_b32 s14, v0
	v_readfirstlane_b32 s15, v1
	s_add_u32 s16, s14, 1
	s_addc_u32 s17, s15, 0
	s_add_u32 s4, s16, s10
	s_addc_u32 s5, s17, s11
	s_cmp_eq_u64 s[4:5], 0
	s_cselect_b32 s5, s17, s5
	s_cselect_b32 s4, s16, s4
	s_and_b64 s[10:11], s[4:5], s[14:15]
	s_mul_i32 s11, s11, 24
	s_mul_hi_u32 s14, s10, 24
	s_mul_i32 s10, s10, 24
	s_add_i32 s11, s14, s11
	v_mov_b32_e32 v1, s11
	s_waitcnt vmcnt(0)
	v_add_co_u32_e32 v0, vcc, s10, v5
	v_addc_co_u32_e32 v1, vcc, v6, v1, vcc
	v_mov_b32_e32 v10, s4
	global_store_dwordx2 v[0:1], v[12:13], off
	v_mov_b32_e32 v11, s5
	s_waitcnt vmcnt(0)
	global_atomic_cmpswap_x2 v[7:8], v9, v[10:13], s[8:9] offset:24 glc
	s_mov_b64 s[10:11], 0
	s_waitcnt vmcnt(0)
	v_cmp_ne_u64_e32 vcc, v[7:8], v[12:13]
	s_and_b64 exec, exec, vcc
	s_cbranch_execz .LBB0_229
.LBB0_228:                              ; =>This Inner Loop Header: Depth=1
	s_sleep 1
	global_store_dwordx2 v[0:1], v[7:8], off
	v_mov_b32_e32 v5, s4
	v_mov_b32_e32 v6, s5
	s_waitcnt vmcnt(0)
	global_atomic_cmpswap_x2 v[5:6], v9, v[5:8], s[8:9] offset:24 glc
	s_waitcnt vmcnt(0)
	v_cmp_eq_u64_e32 vcc, v[5:6], v[7:8]
	v_mov_b32_e32 v8, v6
	s_or_b64 s[10:11], vcc, s[10:11]
	v_mov_b32_e32 v7, v5
	s_andn2_b64 exec, exec, s[10:11]
	s_cbranch_execnz .LBB0_228
.LBB0_229:
	s_or_b64 exec, exec, s[12:13]
	s_getpc_b64 s[10:11]
	s_add_u32 s10, s10, .str.1@rel32@lo+4
	s_addc_u32 s11, s11, .str.1@rel32@hi+12
	s_cmp_lg_u64 s[10:11], 0
	s_cbranch_scc0 .LBB0_315
; %bb.230:
	s_waitcnt vmcnt(0)
	v_and_b32_e32 v34, 2, v3
	v_mov_b32_e32 v1, 0
	v_and_b32_e32 v5, -3, v3
	v_mov_b32_e32 v6, v4
	s_mov_b64 s[12:13], 58
	v_mov_b32_e32 v11, 2
	v_mov_b32_e32 v12, 1
	s_branch .LBB0_232
.LBB0_231:                              ;   in Loop: Header=BB0_232 Depth=1
	s_or_b64 exec, exec, s[18:19]
	s_sub_u32 s12, s12, s14
	s_subb_u32 s13, s13, s15
	s_add_u32 s10, s10, s14
	s_addc_u32 s11, s11, s15
	s_cmp_lg_u64 s[12:13], 0
	s_cbranch_scc0 .LBB0_314
.LBB0_232:                              ; =>This Loop Header: Depth=1
                                        ;     Child Loop BB0_235 Depth 2
                                        ;     Child Loop BB0_243 Depth 2
	;; [unrolled: 1-line block ×11, first 2 shown]
	v_cmp_lt_u64_e64 s[4:5], s[12:13], 56
	v_cmp_gt_u64_e64 s[16:17], s[12:13], 7
	s_and_b64 s[4:5], s[4:5], exec
	s_cselect_b32 s15, s13, 0
	s_cselect_b32 s14, s12, 56
	s_add_u32 s4, s10, 8
	s_addc_u32 s5, s11, 0
	s_and_b64 vcc, exec, s[16:17]
	s_cbranch_vccnz .LBB0_236
; %bb.233:                              ;   in Loop: Header=BB0_232 Depth=1
	s_cmp_eq_u64 s[12:13], 0
	s_cbranch_scc1 .LBB0_237
; %bb.234:                              ;   in Loop: Header=BB0_232 Depth=1
	v_mov_b32_e32 v7, 0
	s_lshl_b64 s[4:5], s[14:15], 3
	s_mov_b64 s[16:17], 0
	v_mov_b32_e32 v8, 0
	s_mov_b64 s[18:19], s[10:11]
.LBB0_235:                              ;   Parent Loop BB0_232 Depth=1
                                        ; =>  This Inner Loop Header: Depth=2
	global_load_ubyte v0, v1, s[18:19]
	s_waitcnt vmcnt(0)
	v_and_b32_e32 v0, 0xffff, v0
	v_lshlrev_b64 v[9:10], s16, v[0:1]
	s_add_u32 s16, s16, 8
	s_addc_u32 s17, s17, 0
	s_add_u32 s18, s18, 1
	s_addc_u32 s19, s19, 0
	v_or_b32_e32 v7, v9, v7
	s_cmp_lg_u32 s4, s16
	v_or_b32_e32 v8, v10, v8
	s_cbranch_scc1 .LBB0_235
	s_branch .LBB0_238
.LBB0_236:                              ;   in Loop: Header=BB0_232 Depth=1
	s_mov_b32 s20, 0
	s_branch .LBB0_239
.LBB0_237:                              ;   in Loop: Header=BB0_232 Depth=1
	v_mov_b32_e32 v7, 0
	v_mov_b32_e32 v8, 0
.LBB0_238:                              ;   in Loop: Header=BB0_232 Depth=1
	s_mov_b64 s[4:5], s[10:11]
	s_mov_b32 s20, 0
	s_cbranch_execnz .LBB0_240
.LBB0_239:                              ;   in Loop: Header=BB0_232 Depth=1
	global_load_dwordx2 v[7:8], v1, s[10:11]
	s_add_i32 s20, s14, -8
.LBB0_240:                              ;   in Loop: Header=BB0_232 Depth=1
	s_add_u32 s16, s4, 8
	s_addc_u32 s17, s5, 0
	s_cmp_gt_u32 s20, 7
	s_cbranch_scc1 .LBB0_244
; %bb.241:                              ;   in Loop: Header=BB0_232 Depth=1
	s_cmp_eq_u32 s20, 0
	s_cbranch_scc1 .LBB0_245
; %bb.242:                              ;   in Loop: Header=BB0_232 Depth=1
	v_mov_b32_e32 v13, 0
	s_mov_b64 s[16:17], 0
	v_mov_b32_e32 v14, 0
	s_mov_b64 s[18:19], 0
.LBB0_243:                              ;   Parent Loop BB0_232 Depth=1
                                        ; =>  This Inner Loop Header: Depth=2
	s_add_u32 s22, s4, s18
	s_addc_u32 s23, s5, s19
	global_load_ubyte v0, v1, s[22:23]
	s_add_u32 s18, s18, 1
	s_addc_u32 s19, s19, 0
	s_waitcnt vmcnt(0)
	v_and_b32_e32 v0, 0xffff, v0
	v_lshlrev_b64 v[9:10], s16, v[0:1]
	s_add_u32 s16, s16, 8
	s_addc_u32 s17, s17, 0
	v_or_b32_e32 v13, v9, v13
	s_cmp_lg_u32 s20, s18
	v_or_b32_e32 v14, v10, v14
	s_cbranch_scc1 .LBB0_243
	s_branch .LBB0_246
.LBB0_244:                              ;   in Loop: Header=BB0_232 Depth=1
                                        ; implicit-def: $vgpr13_vgpr14
	s_mov_b32 s21, 0
	s_branch .LBB0_247
.LBB0_245:                              ;   in Loop: Header=BB0_232 Depth=1
	v_mov_b32_e32 v13, 0
	v_mov_b32_e32 v14, 0
.LBB0_246:                              ;   in Loop: Header=BB0_232 Depth=1
	s_mov_b64 s[16:17], s[4:5]
	s_mov_b32 s21, 0
	s_cbranch_execnz .LBB0_248
.LBB0_247:                              ;   in Loop: Header=BB0_232 Depth=1
	global_load_dwordx2 v[13:14], v1, s[4:5]
	s_add_i32 s21, s20, -8
.LBB0_248:                              ;   in Loop: Header=BB0_232 Depth=1
	s_add_u32 s4, s16, 8
	s_addc_u32 s5, s17, 0
	s_cmp_gt_u32 s21, 7
	s_cbranch_scc1 .LBB0_252
; %bb.249:                              ;   in Loop: Header=BB0_232 Depth=1
	s_cmp_eq_u32 s21, 0
	s_cbranch_scc1 .LBB0_253
; %bb.250:                              ;   in Loop: Header=BB0_232 Depth=1
	v_mov_b32_e32 v15, 0
	s_mov_b64 s[4:5], 0
	v_mov_b32_e32 v16, 0
	s_mov_b64 s[18:19], 0
.LBB0_251:                              ;   Parent Loop BB0_232 Depth=1
                                        ; =>  This Inner Loop Header: Depth=2
	s_add_u32 s22, s16, s18
	s_addc_u32 s23, s17, s19
	global_load_ubyte v0, v1, s[22:23]
	s_add_u32 s18, s18, 1
	s_addc_u32 s19, s19, 0
	s_waitcnt vmcnt(0)
	v_and_b32_e32 v0, 0xffff, v0
	v_lshlrev_b64 v[9:10], s4, v[0:1]
	s_add_u32 s4, s4, 8
	s_addc_u32 s5, s5, 0
	v_or_b32_e32 v15, v9, v15
	s_cmp_lg_u32 s21, s18
	v_or_b32_e32 v16, v10, v16
	s_cbranch_scc1 .LBB0_251
	s_branch .LBB0_254
.LBB0_252:                              ;   in Loop: Header=BB0_232 Depth=1
	s_mov_b32 s20, 0
	s_branch .LBB0_255
.LBB0_253:                              ;   in Loop: Header=BB0_232 Depth=1
	v_mov_b32_e32 v15, 0
	v_mov_b32_e32 v16, 0
.LBB0_254:                              ;   in Loop: Header=BB0_232 Depth=1
	s_mov_b64 s[4:5], s[16:17]
	s_mov_b32 s20, 0
	s_cbranch_execnz .LBB0_256
.LBB0_255:                              ;   in Loop: Header=BB0_232 Depth=1
	global_load_dwordx2 v[15:16], v1, s[16:17]
	s_add_i32 s20, s21, -8
.LBB0_256:                              ;   in Loop: Header=BB0_232 Depth=1
	s_add_u32 s16, s4, 8
	s_addc_u32 s17, s5, 0
	s_cmp_gt_u32 s20, 7
	s_cbranch_scc1 .LBB0_260
; %bb.257:                              ;   in Loop: Header=BB0_232 Depth=1
	s_cmp_eq_u32 s20, 0
	s_cbranch_scc1 .LBB0_261
; %bb.258:                              ;   in Loop: Header=BB0_232 Depth=1
	v_mov_b32_e32 v17, 0
	s_mov_b64 s[16:17], 0
	v_mov_b32_e32 v18, 0
	s_mov_b64 s[18:19], 0
.LBB0_259:                              ;   Parent Loop BB0_232 Depth=1
                                        ; =>  This Inner Loop Header: Depth=2
	s_add_u32 s22, s4, s18
	s_addc_u32 s23, s5, s19
	global_load_ubyte v0, v1, s[22:23]
	s_add_u32 s18, s18, 1
	s_addc_u32 s19, s19, 0
	s_waitcnt vmcnt(0)
	v_and_b32_e32 v0, 0xffff, v0
	v_lshlrev_b64 v[9:10], s16, v[0:1]
	s_add_u32 s16, s16, 8
	s_addc_u32 s17, s17, 0
	v_or_b32_e32 v17, v9, v17
	s_cmp_lg_u32 s20, s18
	v_or_b32_e32 v18, v10, v18
	s_cbranch_scc1 .LBB0_259
	s_branch .LBB0_262
.LBB0_260:                              ;   in Loop: Header=BB0_232 Depth=1
                                        ; implicit-def: $vgpr17_vgpr18
	s_mov_b32 s21, 0
	s_branch .LBB0_263
.LBB0_261:                              ;   in Loop: Header=BB0_232 Depth=1
	v_mov_b32_e32 v17, 0
	v_mov_b32_e32 v18, 0
.LBB0_262:                              ;   in Loop: Header=BB0_232 Depth=1
	s_mov_b64 s[16:17], s[4:5]
	s_mov_b32 s21, 0
	s_cbranch_execnz .LBB0_264
.LBB0_263:                              ;   in Loop: Header=BB0_232 Depth=1
	global_load_dwordx2 v[17:18], v1, s[4:5]
	s_add_i32 s21, s20, -8
.LBB0_264:                              ;   in Loop: Header=BB0_232 Depth=1
	s_add_u32 s4, s16, 8
	s_addc_u32 s5, s17, 0
	s_cmp_gt_u32 s21, 7
	s_cbranch_scc1 .LBB0_268
; %bb.265:                              ;   in Loop: Header=BB0_232 Depth=1
	s_cmp_eq_u32 s21, 0
	s_cbranch_scc1 .LBB0_269
; %bb.266:                              ;   in Loop: Header=BB0_232 Depth=1
	v_mov_b32_e32 v19, 0
	s_mov_b64 s[4:5], 0
	v_mov_b32_e32 v20, 0
	s_mov_b64 s[18:19], 0
.LBB0_267:                              ;   Parent Loop BB0_232 Depth=1
                                        ; =>  This Inner Loop Header: Depth=2
	s_add_u32 s22, s16, s18
	s_addc_u32 s23, s17, s19
	global_load_ubyte v0, v1, s[22:23]
	s_add_u32 s18, s18, 1
	s_addc_u32 s19, s19, 0
	s_waitcnt vmcnt(0)
	v_and_b32_e32 v0, 0xffff, v0
	v_lshlrev_b64 v[9:10], s4, v[0:1]
	s_add_u32 s4, s4, 8
	s_addc_u32 s5, s5, 0
	v_or_b32_e32 v19, v9, v19
	s_cmp_lg_u32 s21, s18
	v_or_b32_e32 v20, v10, v20
	s_cbranch_scc1 .LBB0_267
	s_branch .LBB0_270
.LBB0_268:                              ;   in Loop: Header=BB0_232 Depth=1
	s_mov_b32 s20, 0
	s_branch .LBB0_271
.LBB0_269:                              ;   in Loop: Header=BB0_232 Depth=1
	v_mov_b32_e32 v19, 0
	v_mov_b32_e32 v20, 0
.LBB0_270:                              ;   in Loop: Header=BB0_232 Depth=1
	s_mov_b64 s[4:5], s[16:17]
	s_mov_b32 s20, 0
	s_cbranch_execnz .LBB0_272
.LBB0_271:                              ;   in Loop: Header=BB0_232 Depth=1
	global_load_dwordx2 v[19:20], v1, s[16:17]
	s_add_i32 s20, s21, -8
.LBB0_272:                              ;   in Loop: Header=BB0_232 Depth=1
	s_add_u32 s16, s4, 8
	s_addc_u32 s17, s5, 0
	s_cmp_gt_u32 s20, 7
	s_cbranch_scc1 .LBB0_276
; %bb.273:                              ;   in Loop: Header=BB0_232 Depth=1
	s_cmp_eq_u32 s20, 0
	s_cbranch_scc1 .LBB0_277
; %bb.274:                              ;   in Loop: Header=BB0_232 Depth=1
	v_mov_b32_e32 v21, 0
	s_mov_b64 s[16:17], 0
	v_mov_b32_e32 v22, 0
	s_mov_b64 s[18:19], 0
.LBB0_275:                              ;   Parent Loop BB0_232 Depth=1
                                        ; =>  This Inner Loop Header: Depth=2
	s_add_u32 s22, s4, s18
	s_addc_u32 s23, s5, s19
	global_load_ubyte v0, v1, s[22:23]
	s_add_u32 s18, s18, 1
	s_addc_u32 s19, s19, 0
	s_waitcnt vmcnt(0)
	v_and_b32_e32 v0, 0xffff, v0
	v_lshlrev_b64 v[9:10], s16, v[0:1]
	s_add_u32 s16, s16, 8
	s_addc_u32 s17, s17, 0
	v_or_b32_e32 v21, v9, v21
	s_cmp_lg_u32 s20, s18
	v_or_b32_e32 v22, v10, v22
	s_cbranch_scc1 .LBB0_275
	s_branch .LBB0_278
.LBB0_276:                              ;   in Loop: Header=BB0_232 Depth=1
                                        ; implicit-def: $vgpr21_vgpr22
	s_mov_b32 s21, 0
	s_branch .LBB0_279
.LBB0_277:                              ;   in Loop: Header=BB0_232 Depth=1
	v_mov_b32_e32 v21, 0
	v_mov_b32_e32 v22, 0
.LBB0_278:                              ;   in Loop: Header=BB0_232 Depth=1
	s_mov_b64 s[16:17], s[4:5]
	s_mov_b32 s21, 0
	s_cbranch_execnz .LBB0_280
.LBB0_279:                              ;   in Loop: Header=BB0_232 Depth=1
	global_load_dwordx2 v[21:22], v1, s[4:5]
	s_add_i32 s21, s20, -8
.LBB0_280:                              ;   in Loop: Header=BB0_232 Depth=1
	s_cmp_gt_u32 s21, 7
	s_cbranch_scc1 .LBB0_284
; %bb.281:                              ;   in Loop: Header=BB0_232 Depth=1
	s_cmp_eq_u32 s21, 0
	s_cbranch_scc1 .LBB0_285
; %bb.282:                              ;   in Loop: Header=BB0_232 Depth=1
	v_mov_b32_e32 v23, 0
	s_mov_b64 s[4:5], 0
	v_mov_b32_e32 v24, 0
	s_mov_b64 s[18:19], s[16:17]
.LBB0_283:                              ;   Parent Loop BB0_232 Depth=1
                                        ; =>  This Inner Loop Header: Depth=2
	global_load_ubyte v0, v1, s[18:19]
	s_add_i32 s21, s21, -1
	s_waitcnt vmcnt(0)
	v_and_b32_e32 v0, 0xffff, v0
	v_lshlrev_b64 v[9:10], s4, v[0:1]
	s_add_u32 s4, s4, 8
	s_addc_u32 s5, s5, 0
	s_add_u32 s18, s18, 1
	s_addc_u32 s19, s19, 0
	v_or_b32_e32 v23, v9, v23
	s_cmp_lg_u32 s21, 0
	v_or_b32_e32 v24, v10, v24
	s_cbranch_scc1 .LBB0_283
	s_branch .LBB0_286
.LBB0_284:                              ;   in Loop: Header=BB0_232 Depth=1
	s_branch .LBB0_287
.LBB0_285:                              ;   in Loop: Header=BB0_232 Depth=1
	v_mov_b32_e32 v23, 0
	v_mov_b32_e32 v24, 0
.LBB0_286:                              ;   in Loop: Header=BB0_232 Depth=1
	s_cbranch_execnz .LBB0_288
.LBB0_287:                              ;   in Loop: Header=BB0_232 Depth=1
	global_load_dwordx2 v[23:24], v1, s[16:17]
.LBB0_288:                              ;   in Loop: Header=BB0_232 Depth=1
	v_readfirstlane_b32 s4, v33
	v_mov_b32_e32 v9, 0
	v_mov_b32_e32 v10, 0
	v_cmp_eq_u32_e64 s[4:5], s4, v33
	s_and_saveexec_b64 s[16:17], s[4:5]
	s_cbranch_execz .LBB0_294
; %bb.289:                              ;   in Loop: Header=BB0_232 Depth=1
	global_load_dwordx2 v[27:28], v1, s[8:9] offset:24 glc
	s_waitcnt vmcnt(0)
	buffer_wbinvl1_vol
	global_load_dwordx2 v[9:10], v1, s[8:9] offset:40
	global_load_dwordx2 v[25:26], v1, s[8:9]
	s_waitcnt vmcnt(1)
	v_and_b32_e32 v0, v9, v27
	v_and_b32_e32 v9, v10, v28
	v_mul_lo_u32 v9, v9, 24
	v_mul_hi_u32 v10, v0, 24
	v_mul_lo_u32 v0, v0, 24
	v_add_u32_e32 v10, v10, v9
	s_waitcnt vmcnt(0)
	v_add_co_u32_e32 v9, vcc, v25, v0
	v_addc_co_u32_e32 v10, vcc, v26, v10, vcc
	global_load_dwordx2 v[25:26], v[9:10], off glc
	s_waitcnt vmcnt(0)
	global_atomic_cmpswap_x2 v[9:10], v1, v[25:28], s[8:9] offset:24 glc
	s_waitcnt vmcnt(0)
	buffer_wbinvl1_vol
	v_cmp_ne_u64_e32 vcc, v[9:10], v[27:28]
	s_and_saveexec_b64 s[18:19], vcc
	s_cbranch_execz .LBB0_293
; %bb.290:                              ;   in Loop: Header=BB0_232 Depth=1
	s_mov_b64 s[20:21], 0
.LBB0_291:                              ;   Parent Loop BB0_232 Depth=1
                                        ; =>  This Inner Loop Header: Depth=2
	s_sleep 1
	global_load_dwordx2 v[25:26], v1, s[8:9] offset:40
	global_load_dwordx2 v[30:31], v1, s[8:9]
	v_mov_b32_e32 v28, v10
	v_mov_b32_e32 v27, v9
	s_waitcnt vmcnt(1)
	v_and_b32_e32 v0, v25, v27
	s_waitcnt vmcnt(0)
	v_mad_u64_u32 v[9:10], s[22:23], v0, 24, v[30:31]
	v_and_b32_e32 v25, v26, v28
	v_mov_b32_e32 v0, v10
	v_mad_u64_u32 v[25:26], s[22:23], v25, 24, v[0:1]
	v_mov_b32_e32 v10, v25
	global_load_dwordx2 v[25:26], v[9:10], off glc
	s_waitcnt vmcnt(0)
	global_atomic_cmpswap_x2 v[9:10], v1, v[25:28], s[8:9] offset:24 glc
	s_waitcnt vmcnt(0)
	buffer_wbinvl1_vol
	v_cmp_eq_u64_e32 vcc, v[9:10], v[27:28]
	s_or_b64 s[20:21], vcc, s[20:21]
	s_andn2_b64 exec, exec, s[20:21]
	s_cbranch_execnz .LBB0_291
; %bb.292:                              ;   in Loop: Header=BB0_232 Depth=1
	s_or_b64 exec, exec, s[20:21]
.LBB0_293:                              ;   in Loop: Header=BB0_232 Depth=1
	s_or_b64 exec, exec, s[18:19]
.LBB0_294:                              ;   in Loop: Header=BB0_232 Depth=1
	s_or_b64 exec, exec, s[16:17]
	global_load_dwordx2 v[30:31], v1, s[8:9] offset:40
	global_load_dwordx4 v[25:28], v1, s[8:9]
	v_readfirstlane_b32 s17, v10
	v_readfirstlane_b32 s16, v9
	s_mov_b64 s[18:19], exec
	s_waitcnt vmcnt(1)
	v_readfirstlane_b32 s20, v30
	v_readfirstlane_b32 s21, v31
	s_and_b64 s[20:21], s[20:21], s[16:17]
	s_mul_i32 s22, s21, 24
	s_mul_hi_u32 s23, s20, 24
	s_mul_i32 s24, s20, 24
	s_add_i32 s22, s23, s22
	v_mov_b32_e32 v0, s22
	s_waitcnt vmcnt(0)
	v_add_co_u32_e32 v30, vcc, s24, v25
	v_addc_co_u32_e32 v31, vcc, v26, v0, vcc
	s_and_saveexec_b64 s[22:23], s[4:5]
	s_cbranch_execz .LBB0_296
; %bb.295:                              ;   in Loop: Header=BB0_232 Depth=1
	v_mov_b32_e32 v9, s18
	v_mov_b32_e32 v10, s19
	global_store_dwordx4 v[30:31], v[9:12], off offset:8
.LBB0_296:                              ;   in Loop: Header=BB0_232 Depth=1
	s_or_b64 exec, exec, s[22:23]
	s_lshl_b64 s[18:19], s[20:21], 12
	v_mov_b32_e32 v0, s19
	v_add_co_u32_e32 v27, vcc, s18, v27
	v_addc_co_u32_e32 v28, vcc, v28, v0, vcc
	v_cmp_lt_u64_e64 vcc, s[12:13], 57
	s_lshl_b32 s18, s14, 2
	v_cndmask_b32_e32 v0, 0, v34, vcc
	s_add_i32 s18, s18, 28
	v_and_b32_e32 v5, 0xffffff1f, v5
	s_and_b32 s18, s18, 0x1e0
	v_or_b32_e32 v0, v5, v0
	v_or_b32_e32 v5, s18, v0
	v_readfirstlane_b32 s18, v27
	v_readfirstlane_b32 s19, v28
	s_nop 4
	global_store_dwordx4 v32, v[5:8], s[18:19]
	global_store_dwordx4 v32, v[13:16], s[18:19] offset:16
	global_store_dwordx4 v32, v[17:20], s[18:19] offset:32
	;; [unrolled: 1-line block ×3, first 2 shown]
	s_and_saveexec_b64 s[18:19], s[4:5]
	s_cbranch_execz .LBB0_304
; %bb.297:                              ;   in Loop: Header=BB0_232 Depth=1
	global_load_dwordx2 v[15:16], v1, s[8:9] offset:32 glc
	global_load_dwordx2 v[5:6], v1, s[8:9] offset:40
	v_mov_b32_e32 v13, s16
	v_mov_b32_e32 v14, s17
	s_waitcnt vmcnt(0)
	v_readfirstlane_b32 s20, v5
	v_readfirstlane_b32 s21, v6
	s_and_b64 s[20:21], s[20:21], s[16:17]
	s_mul_i32 s21, s21, 24
	s_mul_hi_u32 s22, s20, 24
	s_mul_i32 s20, s20, 24
	s_add_i32 s21, s22, s21
	v_mov_b32_e32 v0, s21
	v_add_co_u32_e32 v9, vcc, s20, v25
	v_addc_co_u32_e32 v10, vcc, v26, v0, vcc
	global_store_dwordx2 v[9:10], v[15:16], off
	s_waitcnt vmcnt(0)
	global_atomic_cmpswap_x2 v[7:8], v1, v[13:16], s[8:9] offset:32 glc
	s_waitcnt vmcnt(0)
	v_cmp_ne_u64_e32 vcc, v[7:8], v[15:16]
	s_and_saveexec_b64 s[20:21], vcc
	s_cbranch_execz .LBB0_300
; %bb.298:                              ;   in Loop: Header=BB0_232 Depth=1
	s_mov_b64 s[22:23], 0
.LBB0_299:                              ;   Parent Loop BB0_232 Depth=1
                                        ; =>  This Inner Loop Header: Depth=2
	s_sleep 1
	global_store_dwordx2 v[9:10], v[7:8], off
	v_mov_b32_e32 v5, s16
	v_mov_b32_e32 v6, s17
	s_waitcnt vmcnt(0)
	global_atomic_cmpswap_x2 v[5:6], v1, v[5:8], s[8:9] offset:32 glc
	s_waitcnt vmcnt(0)
	v_cmp_eq_u64_e32 vcc, v[5:6], v[7:8]
	v_mov_b32_e32 v8, v6
	s_or_b64 s[22:23], vcc, s[22:23]
	v_mov_b32_e32 v7, v5
	s_andn2_b64 exec, exec, s[22:23]
	s_cbranch_execnz .LBB0_299
.LBB0_300:                              ;   in Loop: Header=BB0_232 Depth=1
	s_or_b64 exec, exec, s[20:21]
	global_load_dwordx2 v[5:6], v1, s[8:9] offset:16
	s_mov_b64 s[22:23], exec
	v_mbcnt_lo_u32_b32 v0, s22, 0
	v_mbcnt_hi_u32_b32 v0, s23, v0
	v_cmp_eq_u32_e32 vcc, 0, v0
	s_and_saveexec_b64 s[20:21], vcc
	s_cbranch_execz .LBB0_302
; %bb.301:                              ;   in Loop: Header=BB0_232 Depth=1
	s_bcnt1_i32_b64 s22, s[22:23]
	v_mov_b32_e32 v0, s22
	s_waitcnt vmcnt(0)
	global_atomic_add_x2 v[5:6], v[0:1], off offset:8
.LBB0_302:                              ;   in Loop: Header=BB0_232 Depth=1
	s_or_b64 exec, exec, s[20:21]
	s_waitcnt vmcnt(0)
	global_load_dwordx2 v[7:8], v[5:6], off offset:16
	s_waitcnt vmcnt(0)
	v_cmp_eq_u64_e32 vcc, 0, v[7:8]
	s_cbranch_vccnz .LBB0_304
; %bb.303:                              ;   in Loop: Header=BB0_232 Depth=1
	global_load_dword v0, v[5:6], off offset:24
	s_waitcnt vmcnt(0)
	v_readfirstlane_b32 s20, v0
	s_and_b32 m0, s20, 0xffffff
	global_store_dwordx2 v[7:8], v[0:1], off
	s_sendmsg sendmsg(MSG_INTERRUPT)
.LBB0_304:                              ;   in Loop: Header=BB0_232 Depth=1
	s_or_b64 exec, exec, s[18:19]
	v_add_co_u32_e32 v5, vcc, v27, v32
	v_addc_co_u32_e32 v6, vcc, 0, v28, vcc
	s_branch .LBB0_308
.LBB0_305:                              ;   in Loop: Header=BB0_308 Depth=2
	s_or_b64 exec, exec, s[18:19]
	v_readfirstlane_b32 s18, v0
	s_cmp_eq_u32 s18, 0
	s_cbranch_scc1 .LBB0_307
; %bb.306:                              ;   in Loop: Header=BB0_308 Depth=2
	s_sleep 1
	s_cbranch_execnz .LBB0_308
	s_branch .LBB0_310
.LBB0_307:                              ;   in Loop: Header=BB0_232 Depth=1
	s_branch .LBB0_310
.LBB0_308:                              ;   Parent Loop BB0_232 Depth=1
                                        ; =>  This Inner Loop Header: Depth=2
	v_mov_b32_e32 v0, 1
	s_and_saveexec_b64 s[18:19], s[4:5]
	s_cbranch_execz .LBB0_305
; %bb.309:                              ;   in Loop: Header=BB0_308 Depth=2
	global_load_dword v0, v[30:31], off offset:20 glc
	s_waitcnt vmcnt(0)
	buffer_wbinvl1_vol
	v_and_b32_e32 v0, 1, v0
	s_branch .LBB0_305
.LBB0_310:                              ;   in Loop: Header=BB0_232 Depth=1
	global_load_dwordx2 v[5:6], v[5:6], off
	s_and_saveexec_b64 s[18:19], s[4:5]
	s_cbranch_execz .LBB0_231
; %bb.311:                              ;   in Loop: Header=BB0_232 Depth=1
	global_load_dwordx2 v[7:8], v1, s[8:9] offset:40
	global_load_dwordx2 v[17:18], v1, s[8:9] offset:24 glc
	global_load_dwordx2 v[9:10], v1, s[8:9]
	s_waitcnt vmcnt(2)
	v_readfirstlane_b32 s20, v7
	v_readfirstlane_b32 s21, v8
	s_add_u32 s22, s20, 1
	s_addc_u32 s23, s21, 0
	s_add_u32 s4, s22, s16
	s_addc_u32 s5, s23, s17
	s_cmp_eq_u64 s[4:5], 0
	s_cselect_b32 s5, s23, s5
	s_cselect_b32 s4, s22, s4
	s_and_b64 s[16:17], s[4:5], s[20:21]
	s_mul_i32 s17, s17, 24
	s_mul_hi_u32 s20, s16, 24
	s_mul_i32 s16, s16, 24
	s_add_i32 s17, s20, s17
	v_mov_b32_e32 v0, s17
	s_waitcnt vmcnt(0)
	v_add_co_u32_e32 v13, vcc, s16, v9
	v_addc_co_u32_e32 v14, vcc, v10, v0, vcc
	v_mov_b32_e32 v15, s4
	global_store_dwordx2 v[13:14], v[17:18], off
	v_mov_b32_e32 v16, s5
	s_waitcnt vmcnt(0)
	global_atomic_cmpswap_x2 v[9:10], v1, v[15:18], s[8:9] offset:24 glc
	s_waitcnt vmcnt(0)
	v_cmp_ne_u64_e32 vcc, v[9:10], v[17:18]
	s_and_b64 exec, exec, vcc
	s_cbranch_execz .LBB0_231
; %bb.312:                              ;   in Loop: Header=BB0_232 Depth=1
	s_mov_b64 s[16:17], 0
.LBB0_313:                              ;   Parent Loop BB0_232 Depth=1
                                        ; =>  This Inner Loop Header: Depth=2
	s_sleep 1
	global_store_dwordx2 v[13:14], v[9:10], off
	v_mov_b32_e32 v7, s4
	v_mov_b32_e32 v8, s5
	s_waitcnt vmcnt(0)
	global_atomic_cmpswap_x2 v[7:8], v1, v[7:10], s[8:9] offset:24 glc
	s_waitcnt vmcnt(0)
	v_cmp_eq_u64_e32 vcc, v[7:8], v[9:10]
	v_mov_b32_e32 v10, v8
	s_or_b64 s[16:17], vcc, s[16:17]
	v_mov_b32_e32 v9, v7
	s_andn2_b64 exec, exec, s[16:17]
	s_cbranch_execnz .LBB0_313
	s_branch .LBB0_231
.LBB0_314:
	s_branch .LBB0_342
.LBB0_315:
                                        ; implicit-def: $vgpr5_vgpr6
	s_cbranch_execz .LBB0_342
; %bb.316:
	v_readfirstlane_b32 s4, v33
	v_mov_b32_e32 v0, 0
	v_mov_b32_e32 v1, 0
	v_cmp_eq_u32_e64 s[4:5], s4, v33
	s_and_saveexec_b64 s[10:11], s[4:5]
	s_cbranch_execz .LBB0_322
; %bb.317:
	s_waitcnt vmcnt(0)
	v_mov_b32_e32 v5, 0
	global_load_dwordx2 v[8:9], v5, s[8:9] offset:24 glc
	s_waitcnt vmcnt(0)
	buffer_wbinvl1_vol
	global_load_dwordx2 v[0:1], v5, s[8:9] offset:40
	global_load_dwordx2 v[6:7], v5, s[8:9]
	s_waitcnt vmcnt(1)
	v_and_b32_e32 v0, v0, v8
	v_and_b32_e32 v1, v1, v9
	v_mul_lo_u32 v1, v1, 24
	v_mul_hi_u32 v10, v0, 24
	v_mul_lo_u32 v0, v0, 24
	v_add_u32_e32 v1, v10, v1
	s_waitcnt vmcnt(0)
	v_add_co_u32_e32 v0, vcc, v6, v0
	v_addc_co_u32_e32 v1, vcc, v7, v1, vcc
	global_load_dwordx2 v[6:7], v[0:1], off glc
	s_waitcnt vmcnt(0)
	global_atomic_cmpswap_x2 v[0:1], v5, v[6:9], s[8:9] offset:24 glc
	s_waitcnt vmcnt(0)
	buffer_wbinvl1_vol
	v_cmp_ne_u64_e32 vcc, v[0:1], v[8:9]
	s_and_saveexec_b64 s[12:13], vcc
	s_cbranch_execz .LBB0_321
; %bb.318:
	s_mov_b64 s[14:15], 0
.LBB0_319:                              ; =>This Inner Loop Header: Depth=1
	s_sleep 1
	global_load_dwordx2 v[6:7], v5, s[8:9] offset:40
	global_load_dwordx2 v[10:11], v5, s[8:9]
	v_mov_b32_e32 v9, v1
	v_mov_b32_e32 v8, v0
	s_waitcnt vmcnt(1)
	v_and_b32_e32 v0, v6, v8
	s_waitcnt vmcnt(0)
	v_mad_u64_u32 v[0:1], s[16:17], v0, 24, v[10:11]
	v_and_b32_e32 v6, v7, v9
	v_mad_u64_u32 v[6:7], s[16:17], v6, 24, v[1:2]
	v_mov_b32_e32 v1, v6
	global_load_dwordx2 v[6:7], v[0:1], off glc
	s_waitcnt vmcnt(0)
	global_atomic_cmpswap_x2 v[0:1], v5, v[6:9], s[8:9] offset:24 glc
	s_waitcnt vmcnt(0)
	buffer_wbinvl1_vol
	v_cmp_eq_u64_e32 vcc, v[0:1], v[8:9]
	s_or_b64 s[14:15], vcc, s[14:15]
	s_andn2_b64 exec, exec, s[14:15]
	s_cbranch_execnz .LBB0_319
; %bb.320:
	s_or_b64 exec, exec, s[14:15]
.LBB0_321:
	s_or_b64 exec, exec, s[12:13]
.LBB0_322:
	s_or_b64 exec, exec, s[10:11]
	s_waitcnt vmcnt(0)
	v_mov_b32_e32 v5, 0
	global_load_dwordx2 v[11:12], v5, s[8:9] offset:40
	global_load_dwordx4 v[7:10], v5, s[8:9]
	v_readfirstlane_b32 s11, v1
	v_readfirstlane_b32 s10, v0
	s_mov_b64 s[12:13], exec
	s_waitcnt vmcnt(1)
	v_readfirstlane_b32 s14, v11
	v_readfirstlane_b32 s15, v12
	s_and_b64 s[14:15], s[14:15], s[10:11]
	s_mul_i32 s16, s15, 24
	s_mul_hi_u32 s17, s14, 24
	s_mul_i32 s18, s14, 24
	s_add_i32 s16, s17, s16
	v_mov_b32_e32 v1, s16
	s_waitcnt vmcnt(0)
	v_add_co_u32_e32 v0, vcc, s18, v7
	v_addc_co_u32_e32 v1, vcc, v8, v1, vcc
	s_and_saveexec_b64 s[16:17], s[4:5]
	s_cbranch_execz .LBB0_324
; %bb.323:
	v_mov_b32_e32 v11, s12
	v_mov_b32_e32 v12, s13
	;; [unrolled: 1-line block ×4, first 2 shown]
	global_store_dwordx4 v[0:1], v[11:14], off offset:8
.LBB0_324:
	s_or_b64 exec, exec, s[16:17]
	s_lshl_b64 s[12:13], s[14:15], 12
	v_mov_b32_e32 v6, s13
	v_add_co_u32_e32 v11, vcc, s12, v9
	v_addc_co_u32_e32 v12, vcc, v10, v6, vcc
	s_movk_i32 s12, 0xff1f
	v_and_or_b32 v3, v3, s12, 32
	s_mov_b32 s12, 0
	v_mov_b32_e32 v6, v5
	v_readfirstlane_b32 s16, v11
	v_readfirstlane_b32 s17, v12
	v_add_co_u32_e32 v9, vcc, v11, v32
	s_mov_b32 s13, s12
	s_mov_b32 s14, s12
	;; [unrolled: 1-line block ×3, first 2 shown]
	s_nop 0
	global_store_dwordx4 v32, v[3:6], s[16:17]
	v_addc_co_u32_e32 v10, vcc, 0, v12, vcc
	v_mov_b32_e32 v3, s12
	v_mov_b32_e32 v4, s13
	;; [unrolled: 1-line block ×4, first 2 shown]
	global_store_dwordx4 v32, v[3:6], s[16:17] offset:16
	global_store_dwordx4 v32, v[3:6], s[16:17] offset:32
	;; [unrolled: 1-line block ×3, first 2 shown]
	s_and_saveexec_b64 s[12:13], s[4:5]
	s_cbranch_execz .LBB0_332
; %bb.325:
	v_mov_b32_e32 v11, 0
	global_load_dwordx2 v[14:15], v11, s[8:9] offset:32 glc
	global_load_dwordx2 v[3:4], v11, s[8:9] offset:40
	v_mov_b32_e32 v12, s10
	v_mov_b32_e32 v13, s11
	s_waitcnt vmcnt(0)
	v_readfirstlane_b32 s14, v3
	v_readfirstlane_b32 s15, v4
	s_and_b64 s[14:15], s[14:15], s[10:11]
	s_mul_i32 s15, s15, 24
	s_mul_hi_u32 s16, s14, 24
	s_mul_i32 s14, s14, 24
	s_add_i32 s15, s16, s15
	v_mov_b32_e32 v3, s15
	v_add_co_u32_e32 v7, vcc, s14, v7
	v_addc_co_u32_e32 v8, vcc, v8, v3, vcc
	global_store_dwordx2 v[7:8], v[14:15], off
	s_waitcnt vmcnt(0)
	global_atomic_cmpswap_x2 v[5:6], v11, v[12:15], s[8:9] offset:32 glc
	s_waitcnt vmcnt(0)
	v_cmp_ne_u64_e32 vcc, v[5:6], v[14:15]
	s_and_saveexec_b64 s[14:15], vcc
	s_cbranch_execz .LBB0_328
; %bb.326:
	s_mov_b64 s[16:17], 0
.LBB0_327:                              ; =>This Inner Loop Header: Depth=1
	s_sleep 1
	global_store_dwordx2 v[7:8], v[5:6], off
	v_mov_b32_e32 v3, s10
	v_mov_b32_e32 v4, s11
	s_waitcnt vmcnt(0)
	global_atomic_cmpswap_x2 v[3:4], v11, v[3:6], s[8:9] offset:32 glc
	s_waitcnt vmcnt(0)
	v_cmp_eq_u64_e32 vcc, v[3:4], v[5:6]
	v_mov_b32_e32 v6, v4
	s_or_b64 s[16:17], vcc, s[16:17]
	v_mov_b32_e32 v5, v3
	s_andn2_b64 exec, exec, s[16:17]
	s_cbranch_execnz .LBB0_327
.LBB0_328:
	s_or_b64 exec, exec, s[14:15]
	v_mov_b32_e32 v6, 0
	global_load_dwordx2 v[3:4], v6, s[8:9] offset:16
	s_mov_b64 s[14:15], exec
	v_mbcnt_lo_u32_b32 v5, s14, 0
	v_mbcnt_hi_u32_b32 v5, s15, v5
	v_cmp_eq_u32_e32 vcc, 0, v5
	s_and_saveexec_b64 s[16:17], vcc
	s_cbranch_execz .LBB0_330
; %bb.329:
	s_bcnt1_i32_b64 s14, s[14:15]
	v_mov_b32_e32 v5, s14
	s_waitcnt vmcnt(0)
	global_atomic_add_x2 v[3:4], v[5:6], off offset:8
.LBB0_330:
	s_or_b64 exec, exec, s[16:17]
	s_waitcnt vmcnt(0)
	global_load_dwordx2 v[5:6], v[3:4], off offset:16
	s_waitcnt vmcnt(0)
	v_cmp_eq_u64_e32 vcc, 0, v[5:6]
	s_cbranch_vccnz .LBB0_332
; %bb.331:
	global_load_dword v3, v[3:4], off offset:24
	v_mov_b32_e32 v4, 0
	s_waitcnt vmcnt(0)
	v_readfirstlane_b32 s14, v3
	s_and_b32 m0, s14, 0xffffff
	global_store_dwordx2 v[5:6], v[3:4], off
	s_sendmsg sendmsg(MSG_INTERRUPT)
.LBB0_332:
	s_or_b64 exec, exec, s[12:13]
	s_branch .LBB0_336
.LBB0_333:                              ;   in Loop: Header=BB0_336 Depth=1
	s_or_b64 exec, exec, s[12:13]
	v_readfirstlane_b32 s12, v3
	s_cmp_eq_u32 s12, 0
	s_cbranch_scc1 .LBB0_335
; %bb.334:                              ;   in Loop: Header=BB0_336 Depth=1
	s_sleep 1
	s_cbranch_execnz .LBB0_336
	s_branch .LBB0_338
.LBB0_335:
	s_branch .LBB0_338
.LBB0_336:                              ; =>This Inner Loop Header: Depth=1
	v_mov_b32_e32 v3, 1
	s_and_saveexec_b64 s[12:13], s[4:5]
	s_cbranch_execz .LBB0_333
; %bb.337:                              ;   in Loop: Header=BB0_336 Depth=1
	global_load_dword v3, v[0:1], off offset:20 glc
	s_waitcnt vmcnt(0)
	buffer_wbinvl1_vol
	v_and_b32_e32 v3, 1, v3
	s_branch .LBB0_333
.LBB0_338:
	global_load_dwordx2 v[5:6], v[9:10], off
	s_and_saveexec_b64 s[12:13], s[4:5]
	s_cbranch_execz .LBB0_341
; %bb.339:
	v_mov_b32_e32 v3, 0
	global_load_dwordx2 v[0:1], v3, s[8:9] offset:40
	global_load_dwordx2 v[11:12], v3, s[8:9] offset:24 glc
	global_load_dwordx2 v[7:8], v3, s[8:9]
	s_waitcnt vmcnt(2)
	v_readfirstlane_b32 s14, v0
	v_readfirstlane_b32 s15, v1
	s_add_u32 s16, s14, 1
	s_addc_u32 s17, s15, 0
	s_add_u32 s4, s16, s10
	s_addc_u32 s5, s17, s11
	s_cmp_eq_u64 s[4:5], 0
	s_cselect_b32 s5, s17, s5
	s_cselect_b32 s4, s16, s4
	s_and_b64 s[10:11], s[4:5], s[14:15]
	s_mul_i32 s11, s11, 24
	s_mul_hi_u32 s14, s10, 24
	s_mul_i32 s10, s10, 24
	s_add_i32 s11, s14, s11
	v_mov_b32_e32 v1, s11
	s_waitcnt vmcnt(0)
	v_add_co_u32_e32 v0, vcc, s10, v7
	v_addc_co_u32_e32 v1, vcc, v8, v1, vcc
	v_mov_b32_e32 v9, s4
	global_store_dwordx2 v[0:1], v[11:12], off
	v_mov_b32_e32 v10, s5
	s_waitcnt vmcnt(0)
	global_atomic_cmpswap_x2 v[9:10], v3, v[9:12], s[8:9] offset:24 glc
	s_mov_b64 s[10:11], 0
	s_waitcnt vmcnt(0)
	v_cmp_ne_u64_e32 vcc, v[9:10], v[11:12]
	s_and_b64 exec, exec, vcc
	s_cbranch_execz .LBB0_341
.LBB0_340:                              ; =>This Inner Loop Header: Depth=1
	s_sleep 1
	global_store_dwordx2 v[0:1], v[9:10], off
	v_mov_b32_e32 v7, s4
	v_mov_b32_e32 v8, s5
	s_waitcnt vmcnt(0)
	global_atomic_cmpswap_x2 v[7:8], v3, v[7:10], s[8:9] offset:24 glc
	s_waitcnt vmcnt(0)
	v_cmp_eq_u64_e32 vcc, v[7:8], v[9:10]
	v_mov_b32_e32 v10, v8
	s_or_b64 s[10:11], vcc, s[10:11]
	v_mov_b32_e32 v9, v7
	s_andn2_b64 exec, exec, s[10:11]
	s_cbranch_execnz .LBB0_340
.LBB0_341:
	s_or_b64 exec, exec, s[12:13]
.LBB0_342:
	v_readfirstlane_b32 s4, v33
	v_mov_b32_e32 v0, 0
	v_mov_b32_e32 v1, 0
	v_cmp_eq_u32_e64 s[4:5], s4, v33
	s_and_saveexec_b64 s[10:11], s[4:5]
	s_cbranch_execz .LBB0_348
; %bb.343:
	s_waitcnt vmcnt(0)
	v_mov_b32_e32 v3, 0
	global_load_dwordx2 v[9:10], v3, s[8:9] offset:24 glc
	s_waitcnt vmcnt(0)
	buffer_wbinvl1_vol
	global_load_dwordx2 v[0:1], v3, s[8:9] offset:40
	global_load_dwordx2 v[7:8], v3, s[8:9]
	s_waitcnt vmcnt(1)
	v_and_b32_e32 v0, v0, v9
	v_and_b32_e32 v1, v1, v10
	v_mul_lo_u32 v1, v1, 24
	v_mul_hi_u32 v4, v0, 24
	v_mul_lo_u32 v0, v0, 24
	v_add_u32_e32 v1, v4, v1
	s_waitcnt vmcnt(0)
	v_add_co_u32_e32 v0, vcc, v7, v0
	v_addc_co_u32_e32 v1, vcc, v8, v1, vcc
	global_load_dwordx2 v[7:8], v[0:1], off glc
	s_waitcnt vmcnt(0)
	global_atomic_cmpswap_x2 v[0:1], v3, v[7:10], s[8:9] offset:24 glc
	s_waitcnt vmcnt(0)
	buffer_wbinvl1_vol
	v_cmp_ne_u64_e32 vcc, v[0:1], v[9:10]
	s_and_saveexec_b64 s[12:13], vcc
	s_cbranch_execz .LBB0_347
; %bb.344:
	s_mov_b64 s[14:15], 0
.LBB0_345:                              ; =>This Inner Loop Header: Depth=1
	s_sleep 1
	global_load_dwordx2 v[7:8], v3, s[8:9] offset:40
	global_load_dwordx2 v[11:12], v3, s[8:9]
	v_mov_b32_e32 v10, v1
	v_mov_b32_e32 v9, v0
	s_waitcnt vmcnt(1)
	v_and_b32_e32 v0, v7, v9
	s_waitcnt vmcnt(0)
	v_mad_u64_u32 v[0:1], s[16:17], v0, 24, v[11:12]
	v_and_b32_e32 v4, v8, v10
	v_mad_u64_u32 v[7:8], s[16:17], v4, 24, v[1:2]
	v_mov_b32_e32 v1, v7
	global_load_dwordx2 v[7:8], v[0:1], off glc
	s_waitcnt vmcnt(0)
	global_atomic_cmpswap_x2 v[0:1], v3, v[7:10], s[8:9] offset:24 glc
	s_waitcnt vmcnt(0)
	buffer_wbinvl1_vol
	v_cmp_eq_u64_e32 vcc, v[0:1], v[9:10]
	s_or_b64 s[14:15], vcc, s[14:15]
	s_andn2_b64 exec, exec, s[14:15]
	s_cbranch_execnz .LBB0_345
; %bb.346:
	s_or_b64 exec, exec, s[14:15]
.LBB0_347:
	s_or_b64 exec, exec, s[12:13]
.LBB0_348:
	s_or_b64 exec, exec, s[10:11]
	v_mov_b32_e32 v8, 0
	global_load_dwordx2 v[3:4], v8, s[8:9] offset:40
	global_load_dwordx4 v[9:12], v8, s[8:9]
	v_readfirstlane_b32 s11, v1
	v_readfirstlane_b32 s10, v0
	s_mov_b64 s[12:13], exec
	s_waitcnt vmcnt(1)
	v_readfirstlane_b32 s14, v3
	v_readfirstlane_b32 s15, v4
	s_and_b64 s[14:15], s[14:15], s[10:11]
	s_mul_i32 s16, s15, 24
	s_mul_hi_u32 s17, s14, 24
	s_mul_i32 s18, s14, 24
	s_add_i32 s16, s17, s16
	v_mov_b32_e32 v1, s16
	s_waitcnt vmcnt(0)
	v_add_co_u32_e32 v0, vcc, s18, v9
	v_addc_co_u32_e32 v1, vcc, v10, v1, vcc
	s_and_saveexec_b64 s[16:17], s[4:5]
	s_cbranch_execz .LBB0_350
; %bb.349:
	v_mov_b32_e32 v14, s13
	v_mov_b32_e32 v13, s12
	;; [unrolled: 1-line block ×4, first 2 shown]
	global_store_dwordx4 v[0:1], v[13:16], off offset:8
.LBB0_350:
	s_or_b64 exec, exec, s[16:17]
	s_lshl_b64 s[12:13], s[14:15], 12
	v_mov_b32_e32 v3, s13
	v_add_co_u32_e32 v4, vcc, s12, v11
	v_addc_co_u32_e32 v3, vcc, v12, v3, vcc
	s_movk_i32 s12, 0xff1f
	v_and_or_b32 v5, v5, s12, 32
	v_add_co_u32_e32 v11, vcc, v4, v32
	s_mov_b32 s12, 0
	v_mov_b32_e32 v7, 1
	v_readfirstlane_b32 s16, v4
	v_readfirstlane_b32 s17, v3
	v_addc_co_u32_e32 v12, vcc, 0, v3, vcc
	s_mov_b32 s13, s12
	s_mov_b32 s14, s12
	;; [unrolled: 1-line block ×3, first 2 shown]
	s_nop 0
	global_store_dwordx4 v32, v[5:8], s[16:17]
	v_mov_b32_e32 v3, s12
	v_mov_b32_e32 v4, s13
	v_mov_b32_e32 v5, s14
	v_mov_b32_e32 v6, s15
	global_store_dwordx4 v32, v[3:6], s[16:17] offset:16
	global_store_dwordx4 v32, v[3:6], s[16:17] offset:32
	;; [unrolled: 1-line block ×3, first 2 shown]
	s_and_saveexec_b64 s[12:13], s[4:5]
	s_cbranch_execz .LBB0_358
; %bb.351:
	v_mov_b32_e32 v13, 0
	global_load_dwordx2 v[16:17], v13, s[8:9] offset:32 glc
	global_load_dwordx2 v[3:4], v13, s[8:9] offset:40
	v_mov_b32_e32 v14, s10
	v_mov_b32_e32 v15, s11
	s_waitcnt vmcnt(0)
	v_readfirstlane_b32 s14, v3
	v_readfirstlane_b32 s15, v4
	s_and_b64 s[14:15], s[14:15], s[10:11]
	s_mul_i32 s15, s15, 24
	s_mul_hi_u32 s16, s14, 24
	s_mul_i32 s14, s14, 24
	s_add_i32 s15, s16, s15
	v_mov_b32_e32 v3, s15
	v_add_co_u32_e32 v7, vcc, s14, v9
	v_addc_co_u32_e32 v8, vcc, v10, v3, vcc
	global_store_dwordx2 v[7:8], v[16:17], off
	s_waitcnt vmcnt(0)
	global_atomic_cmpswap_x2 v[5:6], v13, v[14:17], s[8:9] offset:32 glc
	s_waitcnt vmcnt(0)
	v_cmp_ne_u64_e32 vcc, v[5:6], v[16:17]
	s_and_saveexec_b64 s[14:15], vcc
	s_cbranch_execz .LBB0_354
; %bb.352:
	s_mov_b64 s[16:17], 0
.LBB0_353:                              ; =>This Inner Loop Header: Depth=1
	s_sleep 1
	global_store_dwordx2 v[7:8], v[5:6], off
	v_mov_b32_e32 v3, s10
	v_mov_b32_e32 v4, s11
	s_waitcnt vmcnt(0)
	global_atomic_cmpswap_x2 v[3:4], v13, v[3:6], s[8:9] offset:32 glc
	s_waitcnt vmcnt(0)
	v_cmp_eq_u64_e32 vcc, v[3:4], v[5:6]
	v_mov_b32_e32 v6, v4
	s_or_b64 s[16:17], vcc, s[16:17]
	v_mov_b32_e32 v5, v3
	s_andn2_b64 exec, exec, s[16:17]
	s_cbranch_execnz .LBB0_353
.LBB0_354:
	s_or_b64 exec, exec, s[14:15]
	v_mov_b32_e32 v6, 0
	global_load_dwordx2 v[3:4], v6, s[8:9] offset:16
	s_mov_b64 s[14:15], exec
	v_mbcnt_lo_u32_b32 v5, s14, 0
	v_mbcnt_hi_u32_b32 v5, s15, v5
	v_cmp_eq_u32_e32 vcc, 0, v5
	s_and_saveexec_b64 s[16:17], vcc
	s_cbranch_execz .LBB0_356
; %bb.355:
	s_bcnt1_i32_b64 s14, s[14:15]
	v_mov_b32_e32 v5, s14
	s_waitcnt vmcnt(0)
	global_atomic_add_x2 v[3:4], v[5:6], off offset:8
.LBB0_356:
	s_or_b64 exec, exec, s[16:17]
	s_waitcnt vmcnt(0)
	global_load_dwordx2 v[5:6], v[3:4], off offset:16
	s_waitcnt vmcnt(0)
	v_cmp_eq_u64_e32 vcc, 0, v[5:6]
	s_cbranch_vccnz .LBB0_358
; %bb.357:
	global_load_dword v3, v[3:4], off offset:24
	v_mov_b32_e32 v4, 0
	s_waitcnt vmcnt(0)
	v_readfirstlane_b32 s14, v3
	s_and_b32 m0, s14, 0xffffff
	global_store_dwordx2 v[5:6], v[3:4], off
	s_sendmsg sendmsg(MSG_INTERRUPT)
.LBB0_358:
	s_or_b64 exec, exec, s[12:13]
	s_branch .LBB0_362
.LBB0_359:                              ;   in Loop: Header=BB0_362 Depth=1
	s_or_b64 exec, exec, s[12:13]
	v_readfirstlane_b32 s12, v3
	s_cmp_eq_u32 s12, 0
	s_cbranch_scc1 .LBB0_361
; %bb.360:                              ;   in Loop: Header=BB0_362 Depth=1
	s_sleep 1
	s_cbranch_execnz .LBB0_362
	s_branch .LBB0_364
.LBB0_361:
	s_branch .LBB0_364
.LBB0_362:                              ; =>This Inner Loop Header: Depth=1
	v_mov_b32_e32 v3, 1
	s_and_saveexec_b64 s[12:13], s[4:5]
	s_cbranch_execz .LBB0_359
; %bb.363:                              ;   in Loop: Header=BB0_362 Depth=1
	global_load_dword v3, v[0:1], off offset:20 glc
	s_waitcnt vmcnt(0)
	buffer_wbinvl1_vol
	v_and_b32_e32 v3, 1, v3
	s_branch .LBB0_359
.LBB0_364:
	global_load_dwordx2 v[0:1], v[11:12], off
	s_and_saveexec_b64 s[12:13], s[4:5]
	s_cbranch_execz .LBB0_367
; %bb.365:
	v_mov_b32_e32 v9, 0
	global_load_dwordx2 v[3:4], v9, s[8:9] offset:40
	global_load_dwordx2 v[12:13], v9, s[8:9] offset:24 glc
	global_load_dwordx2 v[5:6], v9, s[8:9]
	s_waitcnt vmcnt(2)
	v_readfirstlane_b32 s14, v3
	v_readfirstlane_b32 s15, v4
	s_add_u32 s16, s14, 1
	s_addc_u32 s17, s15, 0
	s_add_u32 s4, s16, s10
	s_addc_u32 s5, s17, s11
	s_cmp_eq_u64 s[4:5], 0
	s_cselect_b32 s5, s17, s5
	s_cselect_b32 s4, s16, s4
	s_and_b64 s[10:11], s[4:5], s[14:15]
	s_mul_i32 s11, s11, 24
	s_mul_hi_u32 s14, s10, 24
	s_mul_i32 s10, s10, 24
	s_add_i32 s11, s14, s11
	v_mov_b32_e32 v3, s11
	s_waitcnt vmcnt(0)
	v_add_co_u32_e32 v7, vcc, s10, v5
	v_addc_co_u32_e32 v8, vcc, v6, v3, vcc
	v_mov_b32_e32 v10, s4
	global_store_dwordx2 v[7:8], v[12:13], off
	v_mov_b32_e32 v11, s5
	s_waitcnt vmcnt(0)
	global_atomic_cmpswap_x2 v[5:6], v9, v[10:13], s[8:9] offset:24 glc
	s_mov_b64 s[10:11], 0
	s_waitcnt vmcnt(0)
	v_cmp_ne_u64_e32 vcc, v[5:6], v[12:13]
	s_and_b64 exec, exec, vcc
	s_cbranch_execz .LBB0_367
.LBB0_366:                              ; =>This Inner Loop Header: Depth=1
	s_sleep 1
	global_store_dwordx2 v[7:8], v[5:6], off
	v_mov_b32_e32 v3, s4
	v_mov_b32_e32 v4, s5
	s_waitcnt vmcnt(0)
	global_atomic_cmpswap_x2 v[3:4], v9, v[3:6], s[8:9] offset:24 glc
	s_waitcnt vmcnt(0)
	v_cmp_eq_u64_e32 vcc, v[3:4], v[5:6]
	v_mov_b32_e32 v6, v4
	s_or_b64 s[10:11], vcc, s[10:11]
	v_mov_b32_e32 v5, v3
	s_andn2_b64 exec, exec, s[10:11]
	s_cbranch_execnz .LBB0_366
.LBB0_367:
	s_or_b64 exec, exec, s[12:13]
	v_readfirstlane_b32 s4, v33
	v_mov_b32_e32 v8, 0
	v_mov_b32_e32 v9, 0
	v_cmp_eq_u32_e64 s[4:5], s4, v33
	s_and_saveexec_b64 s[10:11], s[4:5]
	s_cbranch_execz .LBB0_373
; %bb.368:
	v_mov_b32_e32 v3, 0
	global_load_dwordx2 v[6:7], v3, s[8:9] offset:24 glc
	s_waitcnt vmcnt(0)
	buffer_wbinvl1_vol
	global_load_dwordx2 v[4:5], v3, s[8:9] offset:40
	global_load_dwordx2 v[8:9], v3, s[8:9]
	s_waitcnt vmcnt(1)
	v_and_b32_e32 v4, v4, v6
	v_and_b32_e32 v5, v5, v7
	v_mul_lo_u32 v5, v5, 24
	v_mul_hi_u32 v10, v4, 24
	v_mul_lo_u32 v4, v4, 24
	v_add_u32_e32 v5, v10, v5
	s_waitcnt vmcnt(0)
	v_add_co_u32_e32 v4, vcc, v8, v4
	v_addc_co_u32_e32 v5, vcc, v9, v5, vcc
	global_load_dwordx2 v[4:5], v[4:5], off glc
	s_waitcnt vmcnt(0)
	global_atomic_cmpswap_x2 v[8:9], v3, v[4:7], s[8:9] offset:24 glc
	s_waitcnt vmcnt(0)
	buffer_wbinvl1_vol
	v_cmp_ne_u64_e32 vcc, v[8:9], v[6:7]
	s_and_saveexec_b64 s[12:13], vcc
	s_cbranch_execz .LBB0_372
; %bb.369:
	s_mov_b64 s[14:15], 0
.LBB0_370:                              ; =>This Inner Loop Header: Depth=1
	s_sleep 1
	global_load_dwordx2 v[4:5], v3, s[8:9] offset:40
	global_load_dwordx2 v[10:11], v3, s[8:9]
	v_mov_b32_e32 v6, v8
	v_mov_b32_e32 v7, v9
	s_waitcnt vmcnt(1)
	v_and_b32_e32 v4, v4, v6
	s_waitcnt vmcnt(0)
	v_mad_u64_u32 v[8:9], s[16:17], v4, 24, v[10:11]
	v_and_b32_e32 v5, v5, v7
	v_mov_b32_e32 v4, v9
	v_mad_u64_u32 v[4:5], s[16:17], v5, 24, v[4:5]
	v_mov_b32_e32 v9, v4
	global_load_dwordx2 v[4:5], v[8:9], off glc
	s_waitcnt vmcnt(0)
	global_atomic_cmpswap_x2 v[8:9], v3, v[4:7], s[8:9] offset:24 glc
	s_waitcnt vmcnt(0)
	buffer_wbinvl1_vol
	v_cmp_eq_u64_e32 vcc, v[8:9], v[6:7]
	s_or_b64 s[14:15], vcc, s[14:15]
	s_andn2_b64 exec, exec, s[14:15]
	s_cbranch_execnz .LBB0_370
; %bb.371:
	s_or_b64 exec, exec, s[14:15]
.LBB0_372:
	s_or_b64 exec, exec, s[12:13]
.LBB0_373:
	s_or_b64 exec, exec, s[10:11]
	v_mov_b32_e32 v3, 0
	global_load_dwordx2 v[10:11], v3, s[8:9] offset:40
	global_load_dwordx4 v[4:7], v3, s[8:9]
	v_readfirstlane_b32 s11, v9
	v_readfirstlane_b32 s10, v8
	s_mov_b64 s[12:13], exec
	s_waitcnt vmcnt(1)
	v_readfirstlane_b32 s14, v10
	v_readfirstlane_b32 s15, v11
	s_and_b64 s[14:15], s[14:15], s[10:11]
	s_mul_i32 s16, s15, 24
	s_mul_hi_u32 s17, s14, 24
	s_mul_i32 s18, s14, 24
	s_add_i32 s16, s17, s16
	v_mov_b32_e32 v9, s16
	s_waitcnt vmcnt(0)
	v_add_co_u32_e32 v8, vcc, s18, v4
	v_addc_co_u32_e32 v9, vcc, v5, v9, vcc
	s_and_saveexec_b64 s[16:17], s[4:5]
	s_cbranch_execz .LBB0_375
; %bb.374:
	v_mov_b32_e32 v10, s12
	v_mov_b32_e32 v11, s13
	;; [unrolled: 1-line block ×4, first 2 shown]
	global_store_dwordx4 v[8:9], v[10:13], off offset:8
.LBB0_375:
	s_or_b64 exec, exec, s[16:17]
	s_lshl_b64 s[12:13], s[14:15], 12
	v_add_co_u32_e32 v6, vcc, s12, v6
	s_movk_i32 s12, 0xff1d
	v_mov_b32_e32 v10, s13
	v_and_or_b32 v0, v0, s12, 34
	s_mov_b32 s12, 0
	v_addc_co_u32_e32 v7, vcc, v7, v10, vcc
	s_mov_b32 s13, s12
	s_mov_b32 s14, s12
	;; [unrolled: 1-line block ×3, first 2 shown]
	v_mov_b32_e32 v10, s12
	v_readfirstlane_b32 s16, v6
	v_readfirstlane_b32 s17, v7
	v_mov_b32_e32 v11, s13
	v_mov_b32_e32 v12, s14
	;; [unrolled: 1-line block ×3, first 2 shown]
	s_nop 1
	global_store_dwordx4 v32, v[0:3], s[16:17]
	global_store_dwordx4 v32, v[10:13], s[16:17] offset:16
	global_store_dwordx4 v32, v[10:13], s[16:17] offset:32
	;; [unrolled: 1-line block ×3, first 2 shown]
	s_and_saveexec_b64 s[12:13], s[4:5]
	s_cbranch_execz .LBB0_383
; %bb.376:
	v_mov_b32_e32 v7, 0
	global_load_dwordx2 v[12:13], v7, s[8:9] offset:32 glc
	global_load_dwordx2 v[0:1], v7, s[8:9] offset:40
	v_mov_b32_e32 v10, s10
	v_mov_b32_e32 v11, s11
	s_waitcnt vmcnt(0)
	v_readfirstlane_b32 s14, v0
	v_readfirstlane_b32 s15, v1
	s_and_b64 s[14:15], s[14:15], s[10:11]
	s_mul_i32 s15, s15, 24
	s_mul_hi_u32 s16, s14, 24
	s_mul_i32 s14, s14, 24
	s_add_i32 s15, s16, s15
	v_mov_b32_e32 v1, s15
	v_add_co_u32_e32 v0, vcc, s14, v4
	v_addc_co_u32_e32 v1, vcc, v5, v1, vcc
	global_store_dwordx2 v[0:1], v[12:13], off
	s_waitcnt vmcnt(0)
	global_atomic_cmpswap_x2 v[5:6], v7, v[10:13], s[8:9] offset:32 glc
	s_waitcnt vmcnt(0)
	v_cmp_ne_u64_e32 vcc, v[5:6], v[12:13]
	s_and_saveexec_b64 s[14:15], vcc
	s_cbranch_execz .LBB0_379
; %bb.377:
	s_mov_b64 s[16:17], 0
.LBB0_378:                              ; =>This Inner Loop Header: Depth=1
	s_sleep 1
	global_store_dwordx2 v[0:1], v[5:6], off
	v_mov_b32_e32 v3, s10
	v_mov_b32_e32 v4, s11
	s_waitcnt vmcnt(0)
	global_atomic_cmpswap_x2 v[3:4], v7, v[3:6], s[8:9] offset:32 glc
	s_waitcnt vmcnt(0)
	v_cmp_eq_u64_e32 vcc, v[3:4], v[5:6]
	v_mov_b32_e32 v6, v4
	s_or_b64 s[16:17], vcc, s[16:17]
	v_mov_b32_e32 v5, v3
	s_andn2_b64 exec, exec, s[16:17]
	s_cbranch_execnz .LBB0_378
.LBB0_379:
	s_or_b64 exec, exec, s[14:15]
	v_mov_b32_e32 v4, 0
	global_load_dwordx2 v[0:1], v4, s[8:9] offset:16
	s_mov_b64 s[14:15], exec
	v_mbcnt_lo_u32_b32 v3, s14, 0
	v_mbcnt_hi_u32_b32 v3, s15, v3
	v_cmp_eq_u32_e32 vcc, 0, v3
	s_and_saveexec_b64 s[16:17], vcc
	s_cbranch_execz .LBB0_381
; %bb.380:
	s_bcnt1_i32_b64 s14, s[14:15]
	v_mov_b32_e32 v3, s14
	s_waitcnt vmcnt(0)
	global_atomic_add_x2 v[0:1], v[3:4], off offset:8
.LBB0_381:
	s_or_b64 exec, exec, s[16:17]
	s_waitcnt vmcnt(0)
	global_load_dwordx2 v[3:4], v[0:1], off offset:16
	s_waitcnt vmcnt(0)
	v_cmp_eq_u64_e32 vcc, 0, v[3:4]
	s_cbranch_vccnz .LBB0_383
; %bb.382:
	global_load_dword v0, v[0:1], off offset:24
	v_mov_b32_e32 v1, 0
	s_waitcnt vmcnt(0)
	v_readfirstlane_b32 s14, v0
	s_and_b32 m0, s14, 0xffffff
	global_store_dwordx2 v[3:4], v[0:1], off
	s_sendmsg sendmsg(MSG_INTERRUPT)
.LBB0_383:
	s_or_b64 exec, exec, s[12:13]
	s_branch .LBB0_387
.LBB0_384:                              ;   in Loop: Header=BB0_387 Depth=1
	s_or_b64 exec, exec, s[12:13]
	v_readfirstlane_b32 s12, v0
	s_cmp_eq_u32 s12, 0
	s_cbranch_scc1 .LBB0_386
; %bb.385:                              ;   in Loop: Header=BB0_387 Depth=1
	s_sleep 1
	s_cbranch_execnz .LBB0_387
	s_branch .LBB0_389
.LBB0_386:
	s_branch .LBB0_389
.LBB0_387:                              ; =>This Inner Loop Header: Depth=1
	v_mov_b32_e32 v0, 1
	s_and_saveexec_b64 s[12:13], s[4:5]
	s_cbranch_execz .LBB0_384
; %bb.388:                              ;   in Loop: Header=BB0_387 Depth=1
	global_load_dword v0, v[8:9], off offset:20 glc
	s_waitcnt vmcnt(0)
	buffer_wbinvl1_vol
	v_and_b32_e32 v0, 1, v0
	s_branch .LBB0_384
.LBB0_389:
	s_and_saveexec_b64 s[12:13], s[4:5]
	s_cbranch_execz .LBB0_392
; %bb.390:
	v_mov_b32_e32 v7, 0
	global_load_dwordx2 v[0:1], v7, s[8:9] offset:40
	global_load_dwordx2 v[10:11], v7, s[8:9] offset:24 glc
	global_load_dwordx2 v[3:4], v7, s[8:9]
	s_waitcnt vmcnt(2)
	v_readfirstlane_b32 s14, v0
	v_readfirstlane_b32 s15, v1
	s_add_u32 s16, s14, 1
	s_addc_u32 s17, s15, 0
	s_add_u32 s4, s16, s10
	s_addc_u32 s5, s17, s11
	s_cmp_eq_u64 s[4:5], 0
	s_cselect_b32 s5, s17, s5
	s_cselect_b32 s4, s16, s4
	s_and_b64 s[10:11], s[4:5], s[14:15]
	s_mul_i32 s11, s11, 24
	s_mul_hi_u32 s14, s10, 24
	s_mul_i32 s10, s10, 24
	s_add_i32 s11, s14, s11
	v_mov_b32_e32 v1, s11
	s_waitcnt vmcnt(0)
	v_add_co_u32_e32 v0, vcc, s10, v3
	v_addc_co_u32_e32 v1, vcc, v4, v1, vcc
	v_mov_b32_e32 v8, s4
	global_store_dwordx2 v[0:1], v[10:11], off
	v_mov_b32_e32 v9, s5
	s_waitcnt vmcnt(0)
	global_atomic_cmpswap_x2 v[5:6], v7, v[8:11], s[8:9] offset:24 glc
	s_mov_b64 s[10:11], 0
	s_waitcnt vmcnt(0)
	v_cmp_ne_u64_e32 vcc, v[5:6], v[10:11]
	s_and_b64 exec, exec, vcc
	s_cbranch_execz .LBB0_392
.LBB0_391:                              ; =>This Inner Loop Header: Depth=1
	s_sleep 1
	global_store_dwordx2 v[0:1], v[5:6], off
	v_mov_b32_e32 v3, s4
	v_mov_b32_e32 v4, s5
	s_waitcnt vmcnt(0)
	global_atomic_cmpswap_x2 v[3:4], v7, v[3:6], s[8:9] offset:24 glc
	s_waitcnt vmcnt(0)
	v_cmp_eq_u64_e32 vcc, v[3:4], v[5:6]
	v_mov_b32_e32 v6, v4
	s_or_b64 s[10:11], vcc, s[10:11]
	v_mov_b32_e32 v5, v3
	s_andn2_b64 exec, exec, s[10:11]
	s_cbranch_execnz .LBB0_391
.LBB0_392:
	s_or_b64 exec, exec, s[12:13]
	v_lshrrev_b32_e32 v0, 1, v29
	v_mov_b32_e32 v1, 0
	v_lshlrev_b64 v[0:1], 2, v[0:1]
	v_mov_b32_e32 v3, s7
	v_add_co_u32_e32 v0, vcc, s6, v0
	v_addc_co_u32_e32 v1, vcc, v3, v1, vcc
	global_store_dword v[0:1], v2, off
.LBB0_393:
	s_endpgm
.LBB0_394:
	s_cbranch_execz .LBB0_197
	s_branch .LBB0_198
	.section	.rodata,"a",@progbits
	.p2align	6, 0x0
	.amdhsa_kernel _ZL32kernel_cg_group_partition_staticILj2EEvPi19TiledGroupShflTests
		.amdhsa_group_segment_fixed_size 0
		.amdhsa_private_segment_fixed_size 12
		.amdhsa_kernarg_size 272
		.amdhsa_user_sgpr_count 8
		.amdhsa_user_sgpr_private_segment_buffer 1
		.amdhsa_user_sgpr_dispatch_ptr 0
		.amdhsa_user_sgpr_queue_ptr 0
		.amdhsa_user_sgpr_kernarg_segment_ptr 1
		.amdhsa_user_sgpr_dispatch_id 0
		.amdhsa_user_sgpr_flat_scratch_init 1
		.amdhsa_user_sgpr_private_segment_size 0
		.amdhsa_uses_dynamic_stack 0
		.amdhsa_system_sgpr_private_segment_wavefront_offset 1
		.amdhsa_system_sgpr_workgroup_id_x 1
		.amdhsa_system_sgpr_workgroup_id_y 0
		.amdhsa_system_sgpr_workgroup_id_z 0
		.amdhsa_system_sgpr_workgroup_info 0
		.amdhsa_system_vgpr_workitem_id 2
		.amdhsa_next_free_vgpr 35
		.amdhsa_next_free_sgpr 32
		.amdhsa_reserve_vcc 1
		.amdhsa_reserve_flat_scratch 1
		.amdhsa_float_round_mode_32 0
		.amdhsa_float_round_mode_16_64 0
		.amdhsa_float_denorm_mode_32 3
		.amdhsa_float_denorm_mode_16_64 3
		.amdhsa_dx10_clamp 1
		.amdhsa_ieee_mode 1
		.amdhsa_fp16_overflow 0
		.amdhsa_exception_fp_ieee_invalid_op 0
		.amdhsa_exception_fp_denorm_src 0
		.amdhsa_exception_fp_ieee_div_zero 0
		.amdhsa_exception_fp_ieee_overflow 0
		.amdhsa_exception_fp_ieee_underflow 0
		.amdhsa_exception_fp_ieee_inexact 0
		.amdhsa_exception_int_div_zero 0
	.end_amdhsa_kernel
	.section	.text._ZL32kernel_cg_group_partition_staticILj2EEvPi19TiledGroupShflTests,"axG",@progbits,_ZL32kernel_cg_group_partition_staticILj2EEvPi19TiledGroupShflTests,comdat
.Lfunc_end0:
	.size	_ZL32kernel_cg_group_partition_staticILj2EEvPi19TiledGroupShflTests, .Lfunc_end0-_ZL32kernel_cg_group_partition_staticILj2EEvPi19TiledGroupShflTests
                                        ; -- End function
	.set _ZL32kernel_cg_group_partition_staticILj2EEvPi19TiledGroupShflTests.num_vgpr, 35
	.set _ZL32kernel_cg_group_partition_staticILj2EEvPi19TiledGroupShflTests.num_agpr, 0
	.set _ZL32kernel_cg_group_partition_staticILj2EEvPi19TiledGroupShflTests.numbered_sgpr, 32
	.set _ZL32kernel_cg_group_partition_staticILj2EEvPi19TiledGroupShflTests.num_named_barrier, 0
	.set _ZL32kernel_cg_group_partition_staticILj2EEvPi19TiledGroupShflTests.private_seg_size, 12
	.set _ZL32kernel_cg_group_partition_staticILj2EEvPi19TiledGroupShflTests.uses_vcc, 1
	.set _ZL32kernel_cg_group_partition_staticILj2EEvPi19TiledGroupShflTests.uses_flat_scratch, 1
	.set _ZL32kernel_cg_group_partition_staticILj2EEvPi19TiledGroupShflTests.has_dyn_sized_stack, 0
	.set _ZL32kernel_cg_group_partition_staticILj2EEvPi19TiledGroupShflTests.has_recursion, 0
	.set _ZL32kernel_cg_group_partition_staticILj2EEvPi19TiledGroupShflTests.has_indirect_call, 0
	.section	.AMDGPU.csdata,"",@progbits
; Kernel info:
; codeLenInByte = 14524
; TotalNumSgprs: 38
; NumVgprs: 35
; ScratchSize: 12
; MemoryBound: 0
; FloatMode: 240
; IeeeMode: 1
; LDSByteSize: 0 bytes/workgroup (compile time only)
; SGPRBlocks: 4
; VGPRBlocks: 8
; NumSGPRsForWavesPerEU: 38
; NumVGPRsForWavesPerEU: 35
; Occupancy: 7
; WaveLimiterHint : 1
; COMPUTE_PGM_RSRC2:SCRATCH_EN: 1
; COMPUTE_PGM_RSRC2:USER_SGPR: 8
; COMPUTE_PGM_RSRC2:TRAP_HANDLER: 0
; COMPUTE_PGM_RSRC2:TGID_X_EN: 1
; COMPUTE_PGM_RSRC2:TGID_Y_EN: 0
; COMPUTE_PGM_RSRC2:TGID_Z_EN: 0
; COMPUTE_PGM_RSRC2:TIDIG_COMP_CNT: 2
	.section	.text._ZL32kernel_cg_group_partition_staticILj4EEvPi19TiledGroupShflTests,"axG",@progbits,_ZL32kernel_cg_group_partition_staticILj4EEvPi19TiledGroupShflTests,comdat
	.globl	_ZL32kernel_cg_group_partition_staticILj4EEvPi19TiledGroupShflTests ; -- Begin function _ZL32kernel_cg_group_partition_staticILj4EEvPi19TiledGroupShflTests
	.p2align	8
	.type	_ZL32kernel_cg_group_partition_staticILj4EEvPi19TiledGroupShflTests,@function
_ZL32kernel_cg_group_partition_staticILj4EEvPi19TiledGroupShflTests: ; @_ZL32kernel_cg_group_partition_staticILj4EEvPi19TiledGroupShflTests
; %bb.0:
	s_add_u32 flat_scratch_lo, s6, s9
	s_load_dword s6, s[4:5], 0x1c
	s_addc_u32 flat_scratch_hi, s7, 0
	s_add_u32 s0, s0, s9
	s_addc_u32 s1, s1, 0
	s_add_u32 s8, s4, 16
	s_addc_u32 s9, s5, 0
	s_waitcnt lgkmcnt(0)
	s_lshr_b32 s28, s6, 16
	s_and_b32 s29, s6, 0xffff
	v_mad_u32_u24 v1, v2, s28, v1
	v_mad_u64_u32 v[29:30], s[6:7], v1, s29, v[0:1]
	v_cmp_eq_u32_e32 vcc, 0, v29
	s_and_saveexec_b64 s[10:11], vcc
	s_cbranch_execz .LBB1_189
; %bb.1:
	s_load_dword s30, s[8:9], 0x10
	s_load_dwordx2 s[12:13], s[8:9], 0x50
	v_mbcnt_lo_u32_b32 v0, -1, 0
	v_mbcnt_hi_u32_b32 v31, -1, v0
	v_readfirstlane_b32 s6, v31
	v_mov_b32_e32 v5, 0
	v_mov_b32_e32 v6, 0
	v_cmp_eq_u32_e64 s[6:7], s6, v31
	s_and_saveexec_b64 s[14:15], s[6:7]
	s_cbranch_execz .LBB1_7
; %bb.2:
	v_mov_b32_e32 v0, 0
	s_waitcnt lgkmcnt(0)
	global_load_dwordx2 v[3:4], v0, s[12:13] offset:24 glc
	s_waitcnt vmcnt(0)
	buffer_wbinvl1_vol
	global_load_dwordx2 v[1:2], v0, s[12:13] offset:40
	global_load_dwordx2 v[5:6], v0, s[12:13]
	s_waitcnt vmcnt(1)
	v_and_b32_e32 v1, v1, v3
	v_and_b32_e32 v2, v2, v4
	v_mul_lo_u32 v2, v2, 24
	v_mul_hi_u32 v7, v1, 24
	v_mul_lo_u32 v1, v1, 24
	v_add_u32_e32 v2, v7, v2
	s_waitcnt vmcnt(0)
	v_add_co_u32_e32 v1, vcc, v5, v1
	v_addc_co_u32_e32 v2, vcc, v6, v2, vcc
	global_load_dwordx2 v[1:2], v[1:2], off glc
	s_waitcnt vmcnt(0)
	global_atomic_cmpswap_x2 v[5:6], v0, v[1:4], s[12:13] offset:24 glc
	s_waitcnt vmcnt(0)
	buffer_wbinvl1_vol
	v_cmp_ne_u64_e32 vcc, v[5:6], v[3:4]
	s_and_saveexec_b64 s[16:17], vcc
	s_cbranch_execz .LBB1_6
; %bb.3:
	s_mov_b64 s[18:19], 0
.LBB1_4:                                ; =>This Inner Loop Header: Depth=1
	s_sleep 1
	global_load_dwordx2 v[1:2], v0, s[12:13] offset:40
	global_load_dwordx2 v[7:8], v0, s[12:13]
	v_mov_b32_e32 v3, v5
	v_mov_b32_e32 v4, v6
	s_waitcnt vmcnt(1)
	v_and_b32_e32 v1, v1, v3
	s_waitcnt vmcnt(0)
	v_mad_u64_u32 v[5:6], s[20:21], v1, 24, v[7:8]
	v_and_b32_e32 v2, v2, v4
	v_mov_b32_e32 v1, v6
	v_mad_u64_u32 v[1:2], s[20:21], v2, 24, v[1:2]
	v_mov_b32_e32 v6, v1
	global_load_dwordx2 v[1:2], v[5:6], off glc
	s_waitcnt vmcnt(0)
	global_atomic_cmpswap_x2 v[5:6], v0, v[1:4], s[12:13] offset:24 glc
	s_waitcnt vmcnt(0)
	buffer_wbinvl1_vol
	v_cmp_eq_u64_e32 vcc, v[5:6], v[3:4]
	s_or_b64 s[18:19], vcc, s[18:19]
	s_andn2_b64 exec, exec, s[18:19]
	s_cbranch_execnz .LBB1_4
; %bb.5:
	s_or_b64 exec, exec, s[18:19]
.LBB1_6:
	s_or_b64 exec, exec, s[16:17]
.LBB1_7:
	s_or_b64 exec, exec, s[14:15]
	v_mov_b32_e32 v4, 0
	s_waitcnt lgkmcnt(0)
	global_load_dwordx2 v[7:8], v4, s[12:13] offset:40
	global_load_dwordx4 v[0:3], v4, s[12:13]
	v_readfirstlane_b32 s15, v6
	v_readfirstlane_b32 s14, v5
	s_mov_b64 s[16:17], exec
	s_waitcnt vmcnt(1)
	v_readfirstlane_b32 s18, v7
	v_readfirstlane_b32 s19, v8
	s_and_b64 s[18:19], s[18:19], s[14:15]
	s_mul_i32 s20, s19, 24
	s_mul_hi_u32 s21, s18, 24
	s_mul_i32 s22, s18, 24
	s_add_i32 s20, s21, s20
	v_mov_b32_e32 v5, s20
	s_waitcnt vmcnt(0)
	v_add_co_u32_e32 v7, vcc, s22, v0
	v_addc_co_u32_e32 v8, vcc, v1, v5, vcc
	s_and_saveexec_b64 s[20:21], s[6:7]
	s_cbranch_execz .LBB1_9
; %bb.8:
	v_mov_b32_e32 v9, s16
	v_mov_b32_e32 v10, s17
	;; [unrolled: 1-line block ×4, first 2 shown]
	global_store_dwordx4 v[7:8], v[9:12], off offset:8
.LBB1_9:
	s_or_b64 exec, exec, s[20:21]
	s_lshl_b64 s[16:17], s[18:19], 12
	v_mov_b32_e32 v5, s17
	v_add_co_u32_e32 v2, vcc, s16, v2
	v_addc_co_u32_e32 v11, vcc, v3, v5, vcc
	v_lshlrev_b32_e32 v30, 6, v31
	s_mov_b32 s16, 0
	v_mov_b32_e32 v3, 33
	v_mov_b32_e32 v5, v4
	;; [unrolled: 1-line block ×3, first 2 shown]
	v_readfirstlane_b32 s20, v2
	v_readfirstlane_b32 s21, v11
	v_add_co_u32_e32 v9, vcc, v2, v30
	s_mov_b32 s17, s16
	s_mov_b32 s18, s16
	;; [unrolled: 1-line block ×3, first 2 shown]
	s_nop 0
	global_store_dwordx4 v30, v[3:6], s[20:21]
	v_mov_b32_e32 v2, s16
	v_addc_co_u32_e32 v10, vcc, 0, v11, vcc
	v_mov_b32_e32 v3, s17
	v_mov_b32_e32 v4, s18
	v_mov_b32_e32 v5, s19
	global_store_dwordx4 v30, v[2:5], s[20:21] offset:16
	global_store_dwordx4 v30, v[2:5], s[20:21] offset:32
	;; [unrolled: 1-line block ×3, first 2 shown]
	s_and_saveexec_b64 s[16:17], s[6:7]
	s_cbranch_execz .LBB1_17
; %bb.10:
	v_mov_b32_e32 v6, 0
	global_load_dwordx2 v[13:14], v6, s[12:13] offset:32 glc
	global_load_dwordx2 v[2:3], v6, s[12:13] offset:40
	v_mov_b32_e32 v11, s14
	v_mov_b32_e32 v12, s15
	s_waitcnt vmcnt(0)
	v_and_b32_e32 v2, s14, v2
	v_and_b32_e32 v3, s15, v3
	v_mul_lo_u32 v3, v3, 24
	v_mul_hi_u32 v4, v2, 24
	v_mul_lo_u32 v2, v2, 24
	v_add_u32_e32 v3, v4, v3
	v_add_co_u32_e32 v4, vcc, v0, v2
	v_addc_co_u32_e32 v5, vcc, v1, v3, vcc
	global_store_dwordx2 v[4:5], v[13:14], off
	s_waitcnt vmcnt(0)
	global_atomic_cmpswap_x2 v[2:3], v6, v[11:14], s[12:13] offset:32 glc
	s_waitcnt vmcnt(0)
	v_cmp_ne_u64_e32 vcc, v[2:3], v[13:14]
	s_and_saveexec_b64 s[18:19], vcc
	s_cbranch_execz .LBB1_13
; %bb.11:
	s_mov_b64 s[20:21], 0
.LBB1_12:                               ; =>This Inner Loop Header: Depth=1
	s_sleep 1
	global_store_dwordx2 v[4:5], v[2:3], off
	v_mov_b32_e32 v0, s14
	v_mov_b32_e32 v1, s15
	s_waitcnt vmcnt(0)
	global_atomic_cmpswap_x2 v[0:1], v6, v[0:3], s[12:13] offset:32 glc
	s_waitcnt vmcnt(0)
	v_cmp_eq_u64_e32 vcc, v[0:1], v[2:3]
	v_mov_b32_e32 v3, v1
	s_or_b64 s[20:21], vcc, s[20:21]
	v_mov_b32_e32 v2, v0
	s_andn2_b64 exec, exec, s[20:21]
	s_cbranch_execnz .LBB1_12
.LBB1_13:
	s_or_b64 exec, exec, s[18:19]
	v_mov_b32_e32 v3, 0
	global_load_dwordx2 v[0:1], v3, s[12:13] offset:16
	s_mov_b64 s[18:19], exec
	v_mbcnt_lo_u32_b32 v2, s18, 0
	v_mbcnt_hi_u32_b32 v2, s19, v2
	v_cmp_eq_u32_e32 vcc, 0, v2
	s_and_saveexec_b64 s[20:21], vcc
	s_cbranch_execz .LBB1_15
; %bb.14:
	s_bcnt1_i32_b64 s18, s[18:19]
	v_mov_b32_e32 v2, s18
	s_waitcnt vmcnt(0)
	global_atomic_add_x2 v[0:1], v[2:3], off offset:8
.LBB1_15:
	s_or_b64 exec, exec, s[20:21]
	s_waitcnt vmcnt(0)
	global_load_dwordx2 v[2:3], v[0:1], off offset:16
	s_waitcnt vmcnt(0)
	v_cmp_eq_u64_e32 vcc, 0, v[2:3]
	s_cbranch_vccnz .LBB1_17
; %bb.16:
	global_load_dword v0, v[0:1], off offset:24
	v_mov_b32_e32 v1, 0
	s_waitcnt vmcnt(0)
	v_readfirstlane_b32 s18, v0
	s_and_b32 m0, s18, 0xffffff
	global_store_dwordx2 v[2:3], v[0:1], off
	s_sendmsg sendmsg(MSG_INTERRUPT)
.LBB1_17:
	s_or_b64 exec, exec, s[16:17]
	s_branch .LBB1_21
.LBB1_18:                               ;   in Loop: Header=BB1_21 Depth=1
	s_or_b64 exec, exec, s[16:17]
	v_readfirstlane_b32 s16, v0
	s_cmp_eq_u32 s16, 0
	s_cbranch_scc1 .LBB1_20
; %bb.19:                               ;   in Loop: Header=BB1_21 Depth=1
	s_sleep 1
	s_cbranch_execnz .LBB1_21
	s_branch .LBB1_23
.LBB1_20:
	s_branch .LBB1_23
.LBB1_21:                               ; =>This Inner Loop Header: Depth=1
	v_mov_b32_e32 v0, 1
	s_and_saveexec_b64 s[16:17], s[6:7]
	s_cbranch_execz .LBB1_18
; %bb.22:                               ;   in Loop: Header=BB1_21 Depth=1
	global_load_dword v0, v[7:8], off offset:20 glc
	s_waitcnt vmcnt(0)
	buffer_wbinvl1_vol
	v_and_b32_e32 v0, 1, v0
	s_branch .LBB1_18
.LBB1_23:
	global_load_dwordx2 v[0:1], v[9:10], off
	s_and_saveexec_b64 s[16:17], s[6:7]
	s_cbranch_execz .LBB1_26
; %bb.24:
	v_mov_b32_e32 v8, 0
	global_load_dwordx2 v[2:3], v8, s[12:13] offset:40
	global_load_dwordx2 v[11:12], v8, s[12:13] offset:24 glc
	global_load_dwordx2 v[4:5], v8, s[12:13]
	s_waitcnt vmcnt(2)
	v_readfirstlane_b32 s18, v2
	v_readfirstlane_b32 s19, v3
	s_add_u32 s20, s18, 1
	s_addc_u32 s21, s19, 0
	s_add_u32 s6, s20, s14
	s_addc_u32 s7, s21, s15
	s_cmp_eq_u64 s[6:7], 0
	s_cselect_b32 s7, s21, s7
	s_cselect_b32 s6, s20, s6
	s_and_b64 s[14:15], s[6:7], s[18:19]
	s_mul_i32 s15, s15, 24
	s_mul_hi_u32 s18, s14, 24
	s_mul_i32 s14, s14, 24
	s_add_i32 s15, s18, s15
	v_mov_b32_e32 v2, s15
	s_waitcnt vmcnt(0)
	v_add_co_u32_e32 v6, vcc, s14, v4
	v_addc_co_u32_e32 v7, vcc, v5, v2, vcc
	v_mov_b32_e32 v9, s6
	global_store_dwordx2 v[6:7], v[11:12], off
	v_mov_b32_e32 v10, s7
	s_waitcnt vmcnt(0)
	global_atomic_cmpswap_x2 v[4:5], v8, v[9:12], s[12:13] offset:24 glc
	s_mov_b64 s[14:15], 0
	s_waitcnt vmcnt(0)
	v_cmp_ne_u64_e32 vcc, v[4:5], v[11:12]
	s_and_b64 exec, exec, vcc
	s_cbranch_execz .LBB1_26
.LBB1_25:                               ; =>This Inner Loop Header: Depth=1
	s_sleep 1
	global_store_dwordx2 v[6:7], v[4:5], off
	v_mov_b32_e32 v2, s6
	v_mov_b32_e32 v3, s7
	s_waitcnt vmcnt(0)
	global_atomic_cmpswap_x2 v[2:3], v8, v[2:5], s[12:13] offset:24 glc
	s_waitcnt vmcnt(0)
	v_cmp_eq_u64_e32 vcc, v[2:3], v[4:5]
	v_mov_b32_e32 v5, v3
	s_or_b64 s[14:15], vcc, s[14:15]
	v_mov_b32_e32 v4, v2
	s_andn2_b64 exec, exec, s[14:15]
	s_cbranch_execnz .LBB1_25
.LBB1_26:
	s_or_b64 exec, exec, s[16:17]
	s_getpc_b64 s[14:15]
	s_add_u32 s14, s14, .str@rel32@lo+4
	s_addc_u32 s15, s15, .str@rel32@hi+12
	s_cmp_lg_u64 s[14:15], 0
	s_cbranch_scc0 .LBB1_112
; %bb.27:
	s_waitcnt vmcnt(0)
	v_and_b32_e32 v32, 2, v0
	v_mov_b32_e32 v26, 0
	v_and_b32_e32 v2, -3, v0
	v_mov_b32_e32 v3, v1
	s_mov_b64 s[16:17], 48
	v_mov_b32_e32 v8, 2
	v_mov_b32_e32 v9, 1
	s_branch .LBB1_29
.LBB1_28:                               ;   in Loop: Header=BB1_29 Depth=1
	s_or_b64 exec, exec, s[22:23]
	s_sub_u32 s16, s16, s18
	s_subb_u32 s17, s17, s19
	s_add_u32 s14, s14, s18
	s_addc_u32 s15, s15, s19
	s_cmp_lg_u64 s[16:17], 0
	s_cbranch_scc0 .LBB1_111
.LBB1_29:                               ; =>This Loop Header: Depth=1
                                        ;     Child Loop BB1_32 Depth 2
                                        ;     Child Loop BB1_40 Depth 2
	;; [unrolled: 1-line block ×11, first 2 shown]
	v_cmp_lt_u64_e64 s[6:7], s[16:17], 56
	v_cmp_gt_u64_e64 s[20:21], s[16:17], 7
	s_and_b64 s[6:7], s[6:7], exec
	s_cselect_b32 s19, s17, 0
	s_cselect_b32 s18, s16, 56
	s_add_u32 s6, s14, 8
	s_addc_u32 s7, s15, 0
	s_and_b64 vcc, exec, s[20:21]
	s_cbranch_vccnz .LBB1_33
; %bb.30:                               ;   in Loop: Header=BB1_29 Depth=1
	s_cmp_eq_u64 s[16:17], 0
	s_cbranch_scc1 .LBB1_34
; %bb.31:                               ;   in Loop: Header=BB1_29 Depth=1
	v_mov_b32_e32 v4, 0
	s_lshl_b64 s[6:7], s[18:19], 3
	s_mov_b64 s[20:21], 0
	v_mov_b32_e32 v5, 0
	s_mov_b64 s[22:23], s[14:15]
.LBB1_32:                               ;   Parent Loop BB1_29 Depth=1
                                        ; =>  This Inner Loop Header: Depth=2
	global_load_ubyte v6, v26, s[22:23]
	s_waitcnt vmcnt(0)
	v_and_b32_e32 v25, 0xffff, v6
	v_lshlrev_b64 v[6:7], s20, v[25:26]
	s_add_u32 s20, s20, 8
	s_addc_u32 s21, s21, 0
	s_add_u32 s22, s22, 1
	s_addc_u32 s23, s23, 0
	v_or_b32_e32 v4, v6, v4
	s_cmp_lg_u32 s6, s20
	v_or_b32_e32 v5, v7, v5
	s_cbranch_scc1 .LBB1_32
	s_branch .LBB1_35
.LBB1_33:                               ;   in Loop: Header=BB1_29 Depth=1
	s_mov_b32 s24, 0
	s_branch .LBB1_36
.LBB1_34:                               ;   in Loop: Header=BB1_29 Depth=1
	v_mov_b32_e32 v4, 0
	v_mov_b32_e32 v5, 0
.LBB1_35:                               ;   in Loop: Header=BB1_29 Depth=1
	s_mov_b64 s[6:7], s[14:15]
	s_mov_b32 s24, 0
	s_cbranch_execnz .LBB1_37
.LBB1_36:                               ;   in Loop: Header=BB1_29 Depth=1
	global_load_dwordx2 v[4:5], v26, s[14:15]
	s_add_i32 s24, s18, -8
.LBB1_37:                               ;   in Loop: Header=BB1_29 Depth=1
	s_add_u32 s20, s6, 8
	s_addc_u32 s21, s7, 0
	s_cmp_gt_u32 s24, 7
	s_cbranch_scc1 .LBB1_41
; %bb.38:                               ;   in Loop: Header=BB1_29 Depth=1
	s_cmp_eq_u32 s24, 0
	s_cbranch_scc1 .LBB1_42
; %bb.39:                               ;   in Loop: Header=BB1_29 Depth=1
	v_mov_b32_e32 v10, 0
	s_mov_b64 s[20:21], 0
	v_mov_b32_e32 v11, 0
	s_mov_b64 s[22:23], 0
.LBB1_40:                               ;   Parent Loop BB1_29 Depth=1
                                        ; =>  This Inner Loop Header: Depth=2
	s_add_u32 s26, s6, s22
	s_addc_u32 s27, s7, s23
	global_load_ubyte v6, v26, s[26:27]
	s_add_u32 s22, s22, 1
	s_addc_u32 s23, s23, 0
	s_waitcnt vmcnt(0)
	v_and_b32_e32 v25, 0xffff, v6
	v_lshlrev_b64 v[6:7], s20, v[25:26]
	s_add_u32 s20, s20, 8
	s_addc_u32 s21, s21, 0
	v_or_b32_e32 v10, v6, v10
	s_cmp_lg_u32 s24, s22
	v_or_b32_e32 v11, v7, v11
	s_cbranch_scc1 .LBB1_40
	s_branch .LBB1_43
.LBB1_41:                               ;   in Loop: Header=BB1_29 Depth=1
                                        ; implicit-def: $vgpr10_vgpr11
	s_mov_b32 s25, 0
	s_branch .LBB1_44
.LBB1_42:                               ;   in Loop: Header=BB1_29 Depth=1
	v_mov_b32_e32 v10, 0
	v_mov_b32_e32 v11, 0
.LBB1_43:                               ;   in Loop: Header=BB1_29 Depth=1
	s_mov_b64 s[20:21], s[6:7]
	s_mov_b32 s25, 0
	s_cbranch_execnz .LBB1_45
.LBB1_44:                               ;   in Loop: Header=BB1_29 Depth=1
	global_load_dwordx2 v[10:11], v26, s[6:7]
	s_add_i32 s25, s24, -8
.LBB1_45:                               ;   in Loop: Header=BB1_29 Depth=1
	s_add_u32 s6, s20, 8
	s_addc_u32 s7, s21, 0
	s_cmp_gt_u32 s25, 7
	s_cbranch_scc1 .LBB1_49
; %bb.46:                               ;   in Loop: Header=BB1_29 Depth=1
	s_cmp_eq_u32 s25, 0
	s_cbranch_scc1 .LBB1_50
; %bb.47:                               ;   in Loop: Header=BB1_29 Depth=1
	v_mov_b32_e32 v12, 0
	s_mov_b64 s[6:7], 0
	v_mov_b32_e32 v13, 0
	s_mov_b64 s[22:23], 0
.LBB1_48:                               ;   Parent Loop BB1_29 Depth=1
                                        ; =>  This Inner Loop Header: Depth=2
	s_add_u32 s26, s20, s22
	s_addc_u32 s27, s21, s23
	global_load_ubyte v6, v26, s[26:27]
	s_add_u32 s22, s22, 1
	s_addc_u32 s23, s23, 0
	s_waitcnt vmcnt(0)
	v_and_b32_e32 v25, 0xffff, v6
	v_lshlrev_b64 v[6:7], s6, v[25:26]
	s_add_u32 s6, s6, 8
	s_addc_u32 s7, s7, 0
	v_or_b32_e32 v12, v6, v12
	s_cmp_lg_u32 s25, s22
	v_or_b32_e32 v13, v7, v13
	s_cbranch_scc1 .LBB1_48
	s_branch .LBB1_51
.LBB1_49:                               ;   in Loop: Header=BB1_29 Depth=1
	s_mov_b32 s24, 0
	s_branch .LBB1_52
.LBB1_50:                               ;   in Loop: Header=BB1_29 Depth=1
	v_mov_b32_e32 v12, 0
	v_mov_b32_e32 v13, 0
.LBB1_51:                               ;   in Loop: Header=BB1_29 Depth=1
	s_mov_b64 s[6:7], s[20:21]
	s_mov_b32 s24, 0
	s_cbranch_execnz .LBB1_53
.LBB1_52:                               ;   in Loop: Header=BB1_29 Depth=1
	global_load_dwordx2 v[12:13], v26, s[20:21]
	s_add_i32 s24, s25, -8
.LBB1_53:                               ;   in Loop: Header=BB1_29 Depth=1
	s_add_u32 s20, s6, 8
	s_addc_u32 s21, s7, 0
	s_cmp_gt_u32 s24, 7
	s_cbranch_scc1 .LBB1_57
; %bb.54:                               ;   in Loop: Header=BB1_29 Depth=1
	s_cmp_eq_u32 s24, 0
	s_cbranch_scc1 .LBB1_58
; %bb.55:                               ;   in Loop: Header=BB1_29 Depth=1
	v_mov_b32_e32 v14, 0
	s_mov_b64 s[20:21], 0
	v_mov_b32_e32 v15, 0
	s_mov_b64 s[22:23], 0
.LBB1_56:                               ;   Parent Loop BB1_29 Depth=1
                                        ; =>  This Inner Loop Header: Depth=2
	s_add_u32 s26, s6, s22
	s_addc_u32 s27, s7, s23
	global_load_ubyte v6, v26, s[26:27]
	s_add_u32 s22, s22, 1
	s_addc_u32 s23, s23, 0
	s_waitcnt vmcnt(0)
	v_and_b32_e32 v25, 0xffff, v6
	v_lshlrev_b64 v[6:7], s20, v[25:26]
	s_add_u32 s20, s20, 8
	s_addc_u32 s21, s21, 0
	v_or_b32_e32 v14, v6, v14
	s_cmp_lg_u32 s24, s22
	v_or_b32_e32 v15, v7, v15
	s_cbranch_scc1 .LBB1_56
	s_branch .LBB1_59
.LBB1_57:                               ;   in Loop: Header=BB1_29 Depth=1
                                        ; implicit-def: $vgpr14_vgpr15
	s_mov_b32 s25, 0
	s_branch .LBB1_60
.LBB1_58:                               ;   in Loop: Header=BB1_29 Depth=1
	v_mov_b32_e32 v14, 0
	v_mov_b32_e32 v15, 0
.LBB1_59:                               ;   in Loop: Header=BB1_29 Depth=1
	s_mov_b64 s[20:21], s[6:7]
	s_mov_b32 s25, 0
	s_cbranch_execnz .LBB1_61
.LBB1_60:                               ;   in Loop: Header=BB1_29 Depth=1
	global_load_dwordx2 v[14:15], v26, s[6:7]
	s_add_i32 s25, s24, -8
.LBB1_61:                               ;   in Loop: Header=BB1_29 Depth=1
	s_add_u32 s6, s20, 8
	s_addc_u32 s7, s21, 0
	s_cmp_gt_u32 s25, 7
	s_cbranch_scc1 .LBB1_65
; %bb.62:                               ;   in Loop: Header=BB1_29 Depth=1
	s_cmp_eq_u32 s25, 0
	s_cbranch_scc1 .LBB1_66
; %bb.63:                               ;   in Loop: Header=BB1_29 Depth=1
	v_mov_b32_e32 v16, 0
	s_mov_b64 s[6:7], 0
	v_mov_b32_e32 v17, 0
	s_mov_b64 s[22:23], 0
.LBB1_64:                               ;   Parent Loop BB1_29 Depth=1
                                        ; =>  This Inner Loop Header: Depth=2
	s_add_u32 s26, s20, s22
	s_addc_u32 s27, s21, s23
	global_load_ubyte v6, v26, s[26:27]
	s_add_u32 s22, s22, 1
	s_addc_u32 s23, s23, 0
	s_waitcnt vmcnt(0)
	v_and_b32_e32 v25, 0xffff, v6
	v_lshlrev_b64 v[6:7], s6, v[25:26]
	s_add_u32 s6, s6, 8
	s_addc_u32 s7, s7, 0
	v_or_b32_e32 v16, v6, v16
	s_cmp_lg_u32 s25, s22
	v_or_b32_e32 v17, v7, v17
	s_cbranch_scc1 .LBB1_64
	s_branch .LBB1_67
.LBB1_65:                               ;   in Loop: Header=BB1_29 Depth=1
	s_mov_b32 s24, 0
	s_branch .LBB1_68
.LBB1_66:                               ;   in Loop: Header=BB1_29 Depth=1
	v_mov_b32_e32 v16, 0
	v_mov_b32_e32 v17, 0
.LBB1_67:                               ;   in Loop: Header=BB1_29 Depth=1
	s_mov_b64 s[6:7], s[20:21]
	s_mov_b32 s24, 0
	s_cbranch_execnz .LBB1_69
.LBB1_68:                               ;   in Loop: Header=BB1_29 Depth=1
	global_load_dwordx2 v[16:17], v26, s[20:21]
	s_add_i32 s24, s25, -8
.LBB1_69:                               ;   in Loop: Header=BB1_29 Depth=1
	s_add_u32 s20, s6, 8
	s_addc_u32 s21, s7, 0
	s_cmp_gt_u32 s24, 7
	s_cbranch_scc1 .LBB1_73
; %bb.70:                               ;   in Loop: Header=BB1_29 Depth=1
	s_cmp_eq_u32 s24, 0
	s_cbranch_scc1 .LBB1_74
; %bb.71:                               ;   in Loop: Header=BB1_29 Depth=1
	v_mov_b32_e32 v18, 0
	s_mov_b64 s[20:21], 0
	v_mov_b32_e32 v19, 0
	s_mov_b64 s[22:23], 0
.LBB1_72:                               ;   Parent Loop BB1_29 Depth=1
                                        ; =>  This Inner Loop Header: Depth=2
	s_add_u32 s26, s6, s22
	s_addc_u32 s27, s7, s23
	global_load_ubyte v6, v26, s[26:27]
	s_add_u32 s22, s22, 1
	s_addc_u32 s23, s23, 0
	s_waitcnt vmcnt(0)
	v_and_b32_e32 v25, 0xffff, v6
	v_lshlrev_b64 v[6:7], s20, v[25:26]
	s_add_u32 s20, s20, 8
	s_addc_u32 s21, s21, 0
	v_or_b32_e32 v18, v6, v18
	s_cmp_lg_u32 s24, s22
	v_or_b32_e32 v19, v7, v19
	s_cbranch_scc1 .LBB1_72
	s_branch .LBB1_75
.LBB1_73:                               ;   in Loop: Header=BB1_29 Depth=1
                                        ; implicit-def: $vgpr18_vgpr19
	s_mov_b32 s25, 0
	s_branch .LBB1_76
.LBB1_74:                               ;   in Loop: Header=BB1_29 Depth=1
	v_mov_b32_e32 v18, 0
	v_mov_b32_e32 v19, 0
.LBB1_75:                               ;   in Loop: Header=BB1_29 Depth=1
	s_mov_b64 s[20:21], s[6:7]
	s_mov_b32 s25, 0
	s_cbranch_execnz .LBB1_77
.LBB1_76:                               ;   in Loop: Header=BB1_29 Depth=1
	global_load_dwordx2 v[18:19], v26, s[6:7]
	s_add_i32 s25, s24, -8
.LBB1_77:                               ;   in Loop: Header=BB1_29 Depth=1
	s_cmp_gt_u32 s25, 7
	s_cbranch_scc1 .LBB1_81
; %bb.78:                               ;   in Loop: Header=BB1_29 Depth=1
	s_cmp_eq_u32 s25, 0
	s_cbranch_scc1 .LBB1_82
; %bb.79:                               ;   in Loop: Header=BB1_29 Depth=1
	v_mov_b32_e32 v20, 0
	s_mov_b64 s[6:7], 0
	v_mov_b32_e32 v21, 0
	s_mov_b64 s[22:23], s[20:21]
.LBB1_80:                               ;   Parent Loop BB1_29 Depth=1
                                        ; =>  This Inner Loop Header: Depth=2
	global_load_ubyte v6, v26, s[22:23]
	s_add_i32 s25, s25, -1
	s_waitcnt vmcnt(0)
	v_and_b32_e32 v25, 0xffff, v6
	v_lshlrev_b64 v[6:7], s6, v[25:26]
	s_add_u32 s6, s6, 8
	s_addc_u32 s7, s7, 0
	s_add_u32 s22, s22, 1
	s_addc_u32 s23, s23, 0
	v_or_b32_e32 v20, v6, v20
	s_cmp_lg_u32 s25, 0
	v_or_b32_e32 v21, v7, v21
	s_cbranch_scc1 .LBB1_80
	s_branch .LBB1_83
.LBB1_81:                               ;   in Loop: Header=BB1_29 Depth=1
	s_branch .LBB1_84
.LBB1_82:                               ;   in Loop: Header=BB1_29 Depth=1
	v_mov_b32_e32 v20, 0
	v_mov_b32_e32 v21, 0
.LBB1_83:                               ;   in Loop: Header=BB1_29 Depth=1
	s_cbranch_execnz .LBB1_85
.LBB1_84:                               ;   in Loop: Header=BB1_29 Depth=1
	global_load_dwordx2 v[20:21], v26, s[20:21]
.LBB1_85:                               ;   in Loop: Header=BB1_29 Depth=1
	v_readfirstlane_b32 s6, v31
	v_mov_b32_e32 v6, 0
	v_mov_b32_e32 v7, 0
	v_cmp_eq_u32_e64 s[6:7], s6, v31
	s_and_saveexec_b64 s[20:21], s[6:7]
	s_cbranch_execz .LBB1_91
; %bb.86:                               ;   in Loop: Header=BB1_29 Depth=1
	global_load_dwordx2 v[24:25], v26, s[12:13] offset:24 glc
	s_waitcnt vmcnt(0)
	buffer_wbinvl1_vol
	global_load_dwordx2 v[6:7], v26, s[12:13] offset:40
	global_load_dwordx2 v[22:23], v26, s[12:13]
	s_waitcnt vmcnt(1)
	v_and_b32_e32 v6, v6, v24
	v_and_b32_e32 v7, v7, v25
	v_mul_lo_u32 v7, v7, 24
	v_mul_hi_u32 v27, v6, 24
	v_mul_lo_u32 v6, v6, 24
	v_add_u32_e32 v7, v27, v7
	s_waitcnt vmcnt(0)
	v_add_co_u32_e32 v6, vcc, v22, v6
	v_addc_co_u32_e32 v7, vcc, v23, v7, vcc
	global_load_dwordx2 v[22:23], v[6:7], off glc
	s_waitcnt vmcnt(0)
	global_atomic_cmpswap_x2 v[6:7], v26, v[22:25], s[12:13] offset:24 glc
	s_waitcnt vmcnt(0)
	buffer_wbinvl1_vol
	v_cmp_ne_u64_e32 vcc, v[6:7], v[24:25]
	s_and_saveexec_b64 s[22:23], vcc
	s_cbranch_execz .LBB1_90
; %bb.87:                               ;   in Loop: Header=BB1_29 Depth=1
	s_mov_b64 s[24:25], 0
.LBB1_88:                               ;   Parent Loop BB1_29 Depth=1
                                        ; =>  This Inner Loop Header: Depth=2
	s_sleep 1
	global_load_dwordx2 v[22:23], v26, s[12:13] offset:40
	global_load_dwordx2 v[27:28], v26, s[12:13]
	v_mov_b32_e32 v25, v7
	v_mov_b32_e32 v24, v6
	s_waitcnt vmcnt(1)
	v_and_b32_e32 v6, v22, v24
	s_waitcnt vmcnt(0)
	v_mad_u64_u32 v[6:7], s[26:27], v6, 24, v[27:28]
	v_and_b32_e32 v22, v23, v25
	v_mad_u64_u32 v[22:23], s[26:27], v22, 24, v[7:8]
	v_mov_b32_e32 v7, v22
	global_load_dwordx2 v[22:23], v[6:7], off glc
	s_waitcnt vmcnt(0)
	global_atomic_cmpswap_x2 v[6:7], v26, v[22:25], s[12:13] offset:24 glc
	s_waitcnt vmcnt(0)
	buffer_wbinvl1_vol
	v_cmp_eq_u64_e32 vcc, v[6:7], v[24:25]
	s_or_b64 s[24:25], vcc, s[24:25]
	s_andn2_b64 exec, exec, s[24:25]
	s_cbranch_execnz .LBB1_88
; %bb.89:                               ;   in Loop: Header=BB1_29 Depth=1
	s_or_b64 exec, exec, s[24:25]
.LBB1_90:                               ;   in Loop: Header=BB1_29 Depth=1
	s_or_b64 exec, exec, s[22:23]
.LBB1_91:                               ;   in Loop: Header=BB1_29 Depth=1
	s_or_b64 exec, exec, s[20:21]
	global_load_dwordx2 v[27:28], v26, s[12:13] offset:40
	global_load_dwordx4 v[22:25], v26, s[12:13]
	v_readfirstlane_b32 s21, v7
	v_readfirstlane_b32 s20, v6
	s_mov_b64 s[22:23], exec
	s_waitcnt vmcnt(1)
	v_readfirstlane_b32 s24, v27
	v_readfirstlane_b32 s25, v28
	s_and_b64 s[24:25], s[24:25], s[20:21]
	s_mul_i32 s26, s25, 24
	s_mul_hi_u32 s27, s24, 24
	s_mul_i32 s31, s24, 24
	s_add_i32 s26, s27, s26
	v_mov_b32_e32 v6, s26
	s_waitcnt vmcnt(0)
	v_add_co_u32_e32 v27, vcc, s31, v22
	v_addc_co_u32_e32 v28, vcc, v23, v6, vcc
	s_and_saveexec_b64 s[26:27], s[6:7]
	s_cbranch_execz .LBB1_93
; %bb.92:                               ;   in Loop: Header=BB1_29 Depth=1
	v_mov_b32_e32 v6, s22
	v_mov_b32_e32 v7, s23
	global_store_dwordx4 v[27:28], v[6:9], off offset:8
.LBB1_93:                               ;   in Loop: Header=BB1_29 Depth=1
	s_or_b64 exec, exec, s[26:27]
	s_lshl_b64 s[22:23], s[24:25], 12
	v_mov_b32_e32 v6, s23
	v_add_co_u32_e32 v24, vcc, s22, v24
	v_addc_co_u32_e32 v33, vcc, v25, v6, vcc
	v_cmp_lt_u64_e64 vcc, s[16:17], 57
	s_lshl_b32 s22, s18, 2
	v_cndmask_b32_e32 v6, 0, v32, vcc
	s_add_i32 s22, s22, 28
	v_and_b32_e32 v2, 0xffffff1f, v2
	s_and_b32 s22, s22, 0x1e0
	v_or_b32_e32 v2, v2, v6
	v_or_b32_e32 v2, s22, v2
	v_readfirstlane_b32 s22, v24
	v_readfirstlane_b32 s23, v33
	s_nop 4
	global_store_dwordx4 v30, v[2:5], s[22:23]
	global_store_dwordx4 v30, v[10:13], s[22:23] offset:16
	global_store_dwordx4 v30, v[14:17], s[22:23] offset:32
	;; [unrolled: 1-line block ×3, first 2 shown]
	s_and_saveexec_b64 s[22:23], s[6:7]
	s_cbranch_execz .LBB1_101
; %bb.94:                               ;   in Loop: Header=BB1_29 Depth=1
	global_load_dwordx2 v[12:13], v26, s[12:13] offset:32 glc
	global_load_dwordx2 v[2:3], v26, s[12:13] offset:40
	v_mov_b32_e32 v10, s20
	v_mov_b32_e32 v11, s21
	s_waitcnt vmcnt(0)
	v_readfirstlane_b32 s24, v2
	v_readfirstlane_b32 s25, v3
	s_and_b64 s[24:25], s[24:25], s[20:21]
	s_mul_i32 s25, s25, 24
	s_mul_hi_u32 s26, s24, 24
	s_mul_i32 s24, s24, 24
	s_add_i32 s25, s26, s25
	v_mov_b32_e32 v2, s25
	v_add_co_u32_e32 v6, vcc, s24, v22
	v_addc_co_u32_e32 v7, vcc, v23, v2, vcc
	global_store_dwordx2 v[6:7], v[12:13], off
	s_waitcnt vmcnt(0)
	global_atomic_cmpswap_x2 v[4:5], v26, v[10:13], s[12:13] offset:32 glc
	s_waitcnt vmcnt(0)
	v_cmp_ne_u64_e32 vcc, v[4:5], v[12:13]
	s_and_saveexec_b64 s[24:25], vcc
	s_cbranch_execz .LBB1_97
; %bb.95:                               ;   in Loop: Header=BB1_29 Depth=1
	s_mov_b64 s[26:27], 0
.LBB1_96:                               ;   Parent Loop BB1_29 Depth=1
                                        ; =>  This Inner Loop Header: Depth=2
	s_sleep 1
	global_store_dwordx2 v[6:7], v[4:5], off
	v_mov_b32_e32 v2, s20
	v_mov_b32_e32 v3, s21
	s_waitcnt vmcnt(0)
	global_atomic_cmpswap_x2 v[2:3], v26, v[2:5], s[12:13] offset:32 glc
	s_waitcnt vmcnt(0)
	v_cmp_eq_u64_e32 vcc, v[2:3], v[4:5]
	v_mov_b32_e32 v5, v3
	s_or_b64 s[26:27], vcc, s[26:27]
	v_mov_b32_e32 v4, v2
	s_andn2_b64 exec, exec, s[26:27]
	s_cbranch_execnz .LBB1_96
.LBB1_97:                               ;   in Loop: Header=BB1_29 Depth=1
	s_or_b64 exec, exec, s[24:25]
	global_load_dwordx2 v[2:3], v26, s[12:13] offset:16
	s_mov_b64 s[26:27], exec
	v_mbcnt_lo_u32_b32 v4, s26, 0
	v_mbcnt_hi_u32_b32 v4, s27, v4
	v_cmp_eq_u32_e32 vcc, 0, v4
	s_and_saveexec_b64 s[24:25], vcc
	s_cbranch_execz .LBB1_99
; %bb.98:                               ;   in Loop: Header=BB1_29 Depth=1
	s_bcnt1_i32_b64 s26, s[26:27]
	v_mov_b32_e32 v25, s26
	s_waitcnt vmcnt(0)
	global_atomic_add_x2 v[2:3], v[25:26], off offset:8
.LBB1_99:                               ;   in Loop: Header=BB1_29 Depth=1
	s_or_b64 exec, exec, s[24:25]
	s_waitcnt vmcnt(0)
	global_load_dwordx2 v[4:5], v[2:3], off offset:16
	s_waitcnt vmcnt(0)
	v_cmp_eq_u64_e32 vcc, 0, v[4:5]
	s_cbranch_vccnz .LBB1_101
; %bb.100:                              ;   in Loop: Header=BB1_29 Depth=1
	global_load_dword v25, v[2:3], off offset:24
	s_waitcnt vmcnt(0)
	v_readfirstlane_b32 s24, v25
	s_and_b32 m0, s24, 0xffffff
	global_store_dwordx2 v[4:5], v[25:26], off
	s_sendmsg sendmsg(MSG_INTERRUPT)
.LBB1_101:                              ;   in Loop: Header=BB1_29 Depth=1
	s_or_b64 exec, exec, s[22:23]
	v_add_co_u32_e32 v2, vcc, v24, v30
	v_addc_co_u32_e32 v3, vcc, 0, v33, vcc
	s_branch .LBB1_105
.LBB1_102:                              ;   in Loop: Header=BB1_105 Depth=2
	s_or_b64 exec, exec, s[22:23]
	v_readfirstlane_b32 s22, v4
	s_cmp_eq_u32 s22, 0
	s_cbranch_scc1 .LBB1_104
; %bb.103:                              ;   in Loop: Header=BB1_105 Depth=2
	s_sleep 1
	s_cbranch_execnz .LBB1_105
	s_branch .LBB1_107
.LBB1_104:                              ;   in Loop: Header=BB1_29 Depth=1
	s_branch .LBB1_107
.LBB1_105:                              ;   Parent Loop BB1_29 Depth=1
                                        ; =>  This Inner Loop Header: Depth=2
	v_mov_b32_e32 v4, 1
	s_and_saveexec_b64 s[22:23], s[6:7]
	s_cbranch_execz .LBB1_102
; %bb.106:                              ;   in Loop: Header=BB1_105 Depth=2
	global_load_dword v4, v[27:28], off offset:20 glc
	s_waitcnt vmcnt(0)
	buffer_wbinvl1_vol
	v_and_b32_e32 v4, 1, v4
	s_branch .LBB1_102
.LBB1_107:                              ;   in Loop: Header=BB1_29 Depth=1
	global_load_dwordx2 v[2:3], v[2:3], off
	s_and_saveexec_b64 s[22:23], s[6:7]
	s_cbranch_execz .LBB1_28
; %bb.108:                              ;   in Loop: Header=BB1_29 Depth=1
	global_load_dwordx2 v[4:5], v26, s[12:13] offset:40
	global_load_dwordx2 v[14:15], v26, s[12:13] offset:24 glc
	global_load_dwordx2 v[6:7], v26, s[12:13]
	s_waitcnt vmcnt(2)
	v_readfirstlane_b32 s24, v4
	v_readfirstlane_b32 s25, v5
	s_add_u32 s26, s24, 1
	s_addc_u32 s27, s25, 0
	s_add_u32 s6, s26, s20
	s_addc_u32 s7, s27, s21
	s_cmp_eq_u64 s[6:7], 0
	s_cselect_b32 s7, s27, s7
	s_cselect_b32 s6, s26, s6
	s_and_b64 s[20:21], s[6:7], s[24:25]
	s_mul_i32 s21, s21, 24
	s_mul_hi_u32 s24, s20, 24
	s_mul_i32 s20, s20, 24
	s_add_i32 s21, s24, s21
	v_mov_b32_e32 v4, s21
	s_waitcnt vmcnt(0)
	v_add_co_u32_e32 v10, vcc, s20, v6
	v_addc_co_u32_e32 v11, vcc, v7, v4, vcc
	v_mov_b32_e32 v12, s6
	global_store_dwordx2 v[10:11], v[14:15], off
	v_mov_b32_e32 v13, s7
	s_waitcnt vmcnt(0)
	global_atomic_cmpswap_x2 v[6:7], v26, v[12:15], s[12:13] offset:24 glc
	s_waitcnt vmcnt(0)
	v_cmp_ne_u64_e32 vcc, v[6:7], v[14:15]
	s_and_b64 exec, exec, vcc
	s_cbranch_execz .LBB1_28
; %bb.109:                              ;   in Loop: Header=BB1_29 Depth=1
	s_mov_b64 s[20:21], 0
.LBB1_110:                              ;   Parent Loop BB1_29 Depth=1
                                        ; =>  This Inner Loop Header: Depth=2
	s_sleep 1
	global_store_dwordx2 v[10:11], v[6:7], off
	v_mov_b32_e32 v4, s6
	v_mov_b32_e32 v5, s7
	s_waitcnt vmcnt(0)
	global_atomic_cmpswap_x2 v[4:5], v26, v[4:7], s[12:13] offset:24 glc
	s_waitcnt vmcnt(0)
	v_cmp_eq_u64_e32 vcc, v[4:5], v[6:7]
	v_mov_b32_e32 v7, v5
	s_or_b64 s[20:21], vcc, s[20:21]
	v_mov_b32_e32 v6, v4
	s_andn2_b64 exec, exec, s[20:21]
	s_cbranch_execnz .LBB1_110
	s_branch .LBB1_28
.LBB1_111:
	s_branch .LBB1_139
.LBB1_112:
                                        ; implicit-def: $vgpr2_vgpr3
	s_cbranch_execz .LBB1_139
; %bb.113:
	v_readfirstlane_b32 s6, v31
	v_mov_b32_e32 v8, 0
	v_mov_b32_e32 v9, 0
	v_cmp_eq_u32_e64 s[6:7], s6, v31
	s_and_saveexec_b64 s[14:15], s[6:7]
	s_cbranch_execz .LBB1_119
; %bb.114:
	s_waitcnt vmcnt(0)
	v_mov_b32_e32 v2, 0
	global_load_dwordx2 v[5:6], v2, s[12:13] offset:24 glc
	s_waitcnt vmcnt(0)
	buffer_wbinvl1_vol
	global_load_dwordx2 v[3:4], v2, s[12:13] offset:40
	global_load_dwordx2 v[7:8], v2, s[12:13]
	s_waitcnt vmcnt(1)
	v_and_b32_e32 v3, v3, v5
	v_and_b32_e32 v4, v4, v6
	v_mul_lo_u32 v4, v4, 24
	v_mul_hi_u32 v9, v3, 24
	v_mul_lo_u32 v3, v3, 24
	v_add_u32_e32 v4, v9, v4
	s_waitcnt vmcnt(0)
	v_add_co_u32_e32 v3, vcc, v7, v3
	v_addc_co_u32_e32 v4, vcc, v8, v4, vcc
	global_load_dwordx2 v[3:4], v[3:4], off glc
	s_waitcnt vmcnt(0)
	global_atomic_cmpswap_x2 v[8:9], v2, v[3:6], s[12:13] offset:24 glc
	s_waitcnt vmcnt(0)
	buffer_wbinvl1_vol
	v_cmp_ne_u64_e32 vcc, v[8:9], v[5:6]
	s_and_saveexec_b64 s[16:17], vcc
	s_cbranch_execz .LBB1_118
; %bb.115:
	s_mov_b64 s[18:19], 0
.LBB1_116:                              ; =>This Inner Loop Header: Depth=1
	s_sleep 1
	global_load_dwordx2 v[3:4], v2, s[12:13] offset:40
	global_load_dwordx2 v[10:11], v2, s[12:13]
	v_mov_b32_e32 v5, v8
	v_mov_b32_e32 v6, v9
	s_waitcnt vmcnt(1)
	v_and_b32_e32 v3, v3, v5
	s_waitcnt vmcnt(0)
	v_mad_u64_u32 v[7:8], s[20:21], v3, 24, v[10:11]
	v_and_b32_e32 v4, v4, v6
	v_mov_b32_e32 v3, v8
	v_mad_u64_u32 v[3:4], s[20:21], v4, 24, v[3:4]
	v_mov_b32_e32 v8, v3
	global_load_dwordx2 v[3:4], v[7:8], off glc
	s_waitcnt vmcnt(0)
	global_atomic_cmpswap_x2 v[8:9], v2, v[3:6], s[12:13] offset:24 glc
	s_waitcnt vmcnt(0)
	buffer_wbinvl1_vol
	v_cmp_eq_u64_e32 vcc, v[8:9], v[5:6]
	s_or_b64 s[18:19], vcc, s[18:19]
	s_andn2_b64 exec, exec, s[18:19]
	s_cbranch_execnz .LBB1_116
; %bb.117:
	s_or_b64 exec, exec, s[18:19]
.LBB1_118:
	s_or_b64 exec, exec, s[16:17]
.LBB1_119:
	s_or_b64 exec, exec, s[14:15]
	s_waitcnt vmcnt(0)
	v_mov_b32_e32 v2, 0
	global_load_dwordx2 v[10:11], v2, s[12:13] offset:40
	global_load_dwordx4 v[4:7], v2, s[12:13]
	v_readfirstlane_b32 s15, v9
	v_readfirstlane_b32 s14, v8
	s_mov_b64 s[16:17], exec
	s_waitcnt vmcnt(1)
	v_readfirstlane_b32 s18, v10
	v_readfirstlane_b32 s19, v11
	s_and_b64 s[18:19], s[18:19], s[14:15]
	s_mul_i32 s20, s19, 24
	s_mul_hi_u32 s21, s18, 24
	s_mul_i32 s22, s18, 24
	s_add_i32 s20, s21, s20
	v_mov_b32_e32 v3, s20
	s_waitcnt vmcnt(0)
	v_add_co_u32_e32 v8, vcc, s22, v4
	v_addc_co_u32_e32 v9, vcc, v5, v3, vcc
	s_and_saveexec_b64 s[20:21], s[6:7]
	s_cbranch_execz .LBB1_121
; %bb.120:
	v_mov_b32_e32 v10, s16
	v_mov_b32_e32 v11, s17
	;; [unrolled: 1-line block ×4, first 2 shown]
	global_store_dwordx4 v[8:9], v[10:13], off offset:8
.LBB1_121:
	s_or_b64 exec, exec, s[20:21]
	s_lshl_b64 s[16:17], s[18:19], 12
	v_mov_b32_e32 v3, s17
	v_add_co_u32_e32 v10, vcc, s16, v6
	v_addc_co_u32_e32 v11, vcc, v7, v3, vcc
	s_movk_i32 s16, 0xff1f
	v_and_or_b32 v0, v0, s16, 32
	s_mov_b32 s16, 0
	v_mov_b32_e32 v3, v2
	v_readfirstlane_b32 s20, v10
	v_readfirstlane_b32 s21, v11
	v_add_co_u32_e32 v6, vcc, v10, v30
	s_mov_b32 s17, s16
	s_mov_b32 s18, s16
	;; [unrolled: 1-line block ×3, first 2 shown]
	s_nop 0
	global_store_dwordx4 v30, v[0:3], s[20:21]
	v_addc_co_u32_e32 v7, vcc, 0, v11, vcc
	v_mov_b32_e32 v0, s16
	v_mov_b32_e32 v1, s17
	;; [unrolled: 1-line block ×4, first 2 shown]
	global_store_dwordx4 v30, v[0:3], s[20:21] offset:16
	global_store_dwordx4 v30, v[0:3], s[20:21] offset:32
	global_store_dwordx4 v30, v[0:3], s[20:21] offset:48
	s_and_saveexec_b64 s[16:17], s[6:7]
	s_cbranch_execz .LBB1_129
; %bb.122:
	v_mov_b32_e32 v10, 0
	global_load_dwordx2 v[13:14], v10, s[12:13] offset:32 glc
	global_load_dwordx2 v[0:1], v10, s[12:13] offset:40
	v_mov_b32_e32 v11, s14
	v_mov_b32_e32 v12, s15
	s_waitcnt vmcnt(0)
	v_readfirstlane_b32 s18, v0
	v_readfirstlane_b32 s19, v1
	s_and_b64 s[18:19], s[18:19], s[14:15]
	s_mul_i32 s19, s19, 24
	s_mul_hi_u32 s20, s18, 24
	s_mul_i32 s18, s18, 24
	s_add_i32 s19, s20, s19
	v_mov_b32_e32 v0, s19
	v_add_co_u32_e32 v4, vcc, s18, v4
	v_addc_co_u32_e32 v5, vcc, v5, v0, vcc
	global_store_dwordx2 v[4:5], v[13:14], off
	s_waitcnt vmcnt(0)
	global_atomic_cmpswap_x2 v[2:3], v10, v[11:14], s[12:13] offset:32 glc
	s_waitcnt vmcnt(0)
	v_cmp_ne_u64_e32 vcc, v[2:3], v[13:14]
	s_and_saveexec_b64 s[18:19], vcc
	s_cbranch_execz .LBB1_125
; %bb.123:
	s_mov_b64 s[20:21], 0
.LBB1_124:                              ; =>This Inner Loop Header: Depth=1
	s_sleep 1
	global_store_dwordx2 v[4:5], v[2:3], off
	v_mov_b32_e32 v0, s14
	v_mov_b32_e32 v1, s15
	s_waitcnt vmcnt(0)
	global_atomic_cmpswap_x2 v[0:1], v10, v[0:3], s[12:13] offset:32 glc
	s_waitcnt vmcnt(0)
	v_cmp_eq_u64_e32 vcc, v[0:1], v[2:3]
	v_mov_b32_e32 v3, v1
	s_or_b64 s[20:21], vcc, s[20:21]
	v_mov_b32_e32 v2, v0
	s_andn2_b64 exec, exec, s[20:21]
	s_cbranch_execnz .LBB1_124
.LBB1_125:
	s_or_b64 exec, exec, s[18:19]
	v_mov_b32_e32 v3, 0
	global_load_dwordx2 v[0:1], v3, s[12:13] offset:16
	s_mov_b64 s[18:19], exec
	v_mbcnt_lo_u32_b32 v2, s18, 0
	v_mbcnt_hi_u32_b32 v2, s19, v2
	v_cmp_eq_u32_e32 vcc, 0, v2
	s_and_saveexec_b64 s[20:21], vcc
	s_cbranch_execz .LBB1_127
; %bb.126:
	s_bcnt1_i32_b64 s18, s[18:19]
	v_mov_b32_e32 v2, s18
	s_waitcnt vmcnt(0)
	global_atomic_add_x2 v[0:1], v[2:3], off offset:8
.LBB1_127:
	s_or_b64 exec, exec, s[20:21]
	s_waitcnt vmcnt(0)
	global_load_dwordx2 v[2:3], v[0:1], off offset:16
	s_waitcnt vmcnt(0)
	v_cmp_eq_u64_e32 vcc, 0, v[2:3]
	s_cbranch_vccnz .LBB1_129
; %bb.128:
	global_load_dword v0, v[0:1], off offset:24
	v_mov_b32_e32 v1, 0
	s_waitcnt vmcnt(0)
	v_readfirstlane_b32 s18, v0
	s_and_b32 m0, s18, 0xffffff
	global_store_dwordx2 v[2:3], v[0:1], off
	s_sendmsg sendmsg(MSG_INTERRUPT)
.LBB1_129:
	s_or_b64 exec, exec, s[16:17]
	s_branch .LBB1_133
.LBB1_130:                              ;   in Loop: Header=BB1_133 Depth=1
	s_or_b64 exec, exec, s[16:17]
	v_readfirstlane_b32 s16, v0
	s_cmp_eq_u32 s16, 0
	s_cbranch_scc1 .LBB1_132
; %bb.131:                              ;   in Loop: Header=BB1_133 Depth=1
	s_sleep 1
	s_cbranch_execnz .LBB1_133
	s_branch .LBB1_135
.LBB1_132:
	s_branch .LBB1_135
.LBB1_133:                              ; =>This Inner Loop Header: Depth=1
	v_mov_b32_e32 v0, 1
	s_and_saveexec_b64 s[16:17], s[6:7]
	s_cbranch_execz .LBB1_130
; %bb.134:                              ;   in Loop: Header=BB1_133 Depth=1
	global_load_dword v0, v[8:9], off offset:20 glc
	s_waitcnt vmcnt(0)
	buffer_wbinvl1_vol
	v_and_b32_e32 v0, 1, v0
	s_branch .LBB1_130
.LBB1_135:
	global_load_dwordx2 v[2:3], v[6:7], off
	s_and_saveexec_b64 s[16:17], s[6:7]
	s_cbranch_execz .LBB1_138
; %bb.136:
	v_mov_b32_e32 v8, 0
	global_load_dwordx2 v[0:1], v8, s[12:13] offset:40
	global_load_dwordx2 v[11:12], v8, s[12:13] offset:24 glc
	global_load_dwordx2 v[4:5], v8, s[12:13]
	s_waitcnt vmcnt(2)
	v_readfirstlane_b32 s18, v0
	v_readfirstlane_b32 s19, v1
	s_add_u32 s20, s18, 1
	s_addc_u32 s21, s19, 0
	s_add_u32 s6, s20, s14
	s_addc_u32 s7, s21, s15
	s_cmp_eq_u64 s[6:7], 0
	s_cselect_b32 s7, s21, s7
	s_cselect_b32 s6, s20, s6
	s_and_b64 s[14:15], s[6:7], s[18:19]
	s_mul_i32 s15, s15, 24
	s_mul_hi_u32 s18, s14, 24
	s_mul_i32 s14, s14, 24
	s_add_i32 s15, s18, s15
	v_mov_b32_e32 v1, s15
	s_waitcnt vmcnt(0)
	v_add_co_u32_e32 v0, vcc, s14, v4
	v_addc_co_u32_e32 v1, vcc, v5, v1, vcc
	v_mov_b32_e32 v9, s6
	global_store_dwordx2 v[0:1], v[11:12], off
	v_mov_b32_e32 v10, s7
	s_waitcnt vmcnt(0)
	global_atomic_cmpswap_x2 v[6:7], v8, v[9:12], s[12:13] offset:24 glc
	s_mov_b64 s[14:15], 0
	s_waitcnt vmcnt(0)
	v_cmp_ne_u64_e32 vcc, v[6:7], v[11:12]
	s_and_b64 exec, exec, vcc
	s_cbranch_execz .LBB1_138
.LBB1_137:                              ; =>This Inner Loop Header: Depth=1
	s_sleep 1
	global_store_dwordx2 v[0:1], v[6:7], off
	v_mov_b32_e32 v4, s6
	v_mov_b32_e32 v5, s7
	s_waitcnt vmcnt(0)
	global_atomic_cmpswap_x2 v[4:5], v8, v[4:7], s[12:13] offset:24 glc
	s_waitcnt vmcnt(0)
	v_cmp_eq_u64_e32 vcc, v[4:5], v[6:7]
	v_mov_b32_e32 v7, v5
	s_or_b64 s[14:15], vcc, s[14:15]
	v_mov_b32_e32 v6, v4
	s_andn2_b64 exec, exec, s[14:15]
	s_cbranch_execnz .LBB1_137
.LBB1_138:
	s_or_b64 exec, exec, s[16:17]
.LBB1_139:
	v_readfirstlane_b32 s6, v31
	s_waitcnt vmcnt(0)
	v_mov_b32_e32 v0, 0
	v_mov_b32_e32 v1, 0
	v_cmp_eq_u32_e64 s[6:7], s6, v31
	s_and_saveexec_b64 s[14:15], s[6:7]
	s_cbranch_execz .LBB1_145
; %bb.140:
	v_mov_b32_e32 v4, 0
	global_load_dwordx2 v[7:8], v4, s[12:13] offset:24 glc
	s_waitcnt vmcnt(0)
	buffer_wbinvl1_vol
	global_load_dwordx2 v[0:1], v4, s[12:13] offset:40
	global_load_dwordx2 v[5:6], v4, s[12:13]
	s_waitcnt vmcnt(1)
	v_and_b32_e32 v0, v0, v7
	v_and_b32_e32 v1, v1, v8
	v_mul_lo_u32 v1, v1, 24
	v_mul_hi_u32 v9, v0, 24
	v_mul_lo_u32 v0, v0, 24
	v_add_u32_e32 v1, v9, v1
	s_waitcnt vmcnt(0)
	v_add_co_u32_e32 v0, vcc, v5, v0
	v_addc_co_u32_e32 v1, vcc, v6, v1, vcc
	global_load_dwordx2 v[5:6], v[0:1], off glc
	s_waitcnt vmcnt(0)
	global_atomic_cmpswap_x2 v[0:1], v4, v[5:8], s[12:13] offset:24 glc
	s_waitcnt vmcnt(0)
	buffer_wbinvl1_vol
	v_cmp_ne_u64_e32 vcc, v[0:1], v[7:8]
	s_and_saveexec_b64 s[16:17], vcc
	s_cbranch_execz .LBB1_144
; %bb.141:
	s_mov_b64 s[18:19], 0
.LBB1_142:                              ; =>This Inner Loop Header: Depth=1
	s_sleep 1
	global_load_dwordx2 v[5:6], v4, s[12:13] offset:40
	global_load_dwordx2 v[9:10], v4, s[12:13]
	v_mov_b32_e32 v8, v1
	v_mov_b32_e32 v7, v0
	s_waitcnt vmcnt(1)
	v_and_b32_e32 v0, v5, v7
	s_waitcnt vmcnt(0)
	v_mad_u64_u32 v[0:1], s[20:21], v0, 24, v[9:10]
	v_and_b32_e32 v5, v6, v8
	v_mad_u64_u32 v[5:6], s[20:21], v5, 24, v[1:2]
	v_mov_b32_e32 v1, v5
	global_load_dwordx2 v[5:6], v[0:1], off glc
	s_waitcnt vmcnt(0)
	global_atomic_cmpswap_x2 v[0:1], v4, v[5:8], s[12:13] offset:24 glc
	s_waitcnt vmcnt(0)
	buffer_wbinvl1_vol
	v_cmp_eq_u64_e32 vcc, v[0:1], v[7:8]
	s_or_b64 s[18:19], vcc, s[18:19]
	s_andn2_b64 exec, exec, s[18:19]
	s_cbranch_execnz .LBB1_142
; %bb.143:
	s_or_b64 exec, exec, s[18:19]
.LBB1_144:
	s_or_b64 exec, exec, s[16:17]
.LBB1_145:
	s_or_b64 exec, exec, s[14:15]
	v_mov_b32_e32 v5, 0
	global_load_dwordx2 v[10:11], v5, s[12:13] offset:40
	global_load_dwordx4 v[6:9], v5, s[12:13]
	v_readfirstlane_b32 s15, v1
	v_readfirstlane_b32 s14, v0
	s_mov_b64 s[16:17], exec
	s_waitcnt vmcnt(1)
	v_readfirstlane_b32 s18, v10
	v_readfirstlane_b32 s19, v11
	s_and_b64 s[18:19], s[18:19], s[14:15]
	s_mul_i32 s20, s19, 24
	s_mul_hi_u32 s21, s18, 24
	s_mul_i32 s22, s18, 24
	s_add_i32 s20, s21, s20
	v_mov_b32_e32 v0, s20
	s_waitcnt vmcnt(0)
	v_add_co_u32_e32 v10, vcc, s22, v6
	v_addc_co_u32_e32 v11, vcc, v7, v0, vcc
	s_and_saveexec_b64 s[20:21], s[6:7]
	s_cbranch_execz .LBB1_147
; %bb.146:
	v_mov_b32_e32 v12, s16
	v_mov_b32_e32 v13, s17
	;; [unrolled: 1-line block ×4, first 2 shown]
	global_store_dwordx4 v[10:11], v[12:15], off offset:8
.LBB1_147:
	s_or_b64 exec, exec, s[20:21]
	s_lshl_b64 s[16:17], s[18:19], 12
	v_mov_b32_e32 v0, s17
	v_add_co_u32_e32 v1, vcc, s16, v8
	s_mul_i32 s16, s28, s29
	s_and_b32 s17, 0xffff, s30
	s_mul_i32 s16, s16, s17
	v_addc_co_u32_e32 v0, vcc, v9, v0, vcc
	s_lshr_b32 s17, s16, 2
	s_movk_i32 s18, 0xff1f
	s_mov_b32 s16, 0
	v_and_or_b32 v2, v2, s18, 32
	v_add_co_u32_e32 v8, vcc, v1, v30
	v_mov_b32_e32 v4, s17
	v_readfirstlane_b32 s20, v1
	v_readfirstlane_b32 s21, v0
	v_addc_co_u32_e32 v9, vcc, 0, v0, vcc
	s_mov_b32 s17, s16
	s_mov_b32 s18, s16
	;; [unrolled: 1-line block ×3, first 2 shown]
	s_nop 0
	global_store_dwordx4 v30, v[2:5], s[20:21]
	v_mov_b32_e32 v0, s16
	v_mov_b32_e32 v1, s17
	;; [unrolled: 1-line block ×4, first 2 shown]
	global_store_dwordx4 v30, v[0:3], s[20:21] offset:16
	global_store_dwordx4 v30, v[0:3], s[20:21] offset:32
	;; [unrolled: 1-line block ×3, first 2 shown]
	s_and_saveexec_b64 s[16:17], s[6:7]
	s_cbranch_execz .LBB1_155
; %bb.148:
	v_mov_b32_e32 v12, 0
	global_load_dwordx2 v[15:16], v12, s[12:13] offset:32 glc
	global_load_dwordx2 v[0:1], v12, s[12:13] offset:40
	v_mov_b32_e32 v13, s14
	v_mov_b32_e32 v14, s15
	s_waitcnt vmcnt(0)
	v_readfirstlane_b32 s18, v0
	v_readfirstlane_b32 s19, v1
	s_and_b64 s[18:19], s[18:19], s[14:15]
	s_mul_i32 s19, s19, 24
	s_mul_hi_u32 s20, s18, 24
	s_mul_i32 s18, s18, 24
	s_add_i32 s19, s20, s19
	v_mov_b32_e32 v0, s19
	v_add_co_u32_e32 v4, vcc, s18, v6
	v_addc_co_u32_e32 v5, vcc, v7, v0, vcc
	global_store_dwordx2 v[4:5], v[15:16], off
	s_waitcnt vmcnt(0)
	global_atomic_cmpswap_x2 v[2:3], v12, v[13:16], s[12:13] offset:32 glc
	s_waitcnt vmcnt(0)
	v_cmp_ne_u64_e32 vcc, v[2:3], v[15:16]
	s_and_saveexec_b64 s[18:19], vcc
	s_cbranch_execz .LBB1_151
; %bb.149:
	s_mov_b64 s[20:21], 0
.LBB1_150:                              ; =>This Inner Loop Header: Depth=1
	s_sleep 1
	global_store_dwordx2 v[4:5], v[2:3], off
	v_mov_b32_e32 v0, s14
	v_mov_b32_e32 v1, s15
	s_waitcnt vmcnt(0)
	global_atomic_cmpswap_x2 v[0:1], v12, v[0:3], s[12:13] offset:32 glc
	s_waitcnt vmcnt(0)
	v_cmp_eq_u64_e32 vcc, v[0:1], v[2:3]
	v_mov_b32_e32 v3, v1
	s_or_b64 s[20:21], vcc, s[20:21]
	v_mov_b32_e32 v2, v0
	s_andn2_b64 exec, exec, s[20:21]
	s_cbranch_execnz .LBB1_150
.LBB1_151:
	s_or_b64 exec, exec, s[18:19]
	v_mov_b32_e32 v3, 0
	global_load_dwordx2 v[0:1], v3, s[12:13] offset:16
	s_mov_b64 s[18:19], exec
	v_mbcnt_lo_u32_b32 v2, s18, 0
	v_mbcnt_hi_u32_b32 v2, s19, v2
	v_cmp_eq_u32_e32 vcc, 0, v2
	s_and_saveexec_b64 s[20:21], vcc
	s_cbranch_execz .LBB1_153
; %bb.152:
	s_bcnt1_i32_b64 s18, s[18:19]
	v_mov_b32_e32 v2, s18
	s_waitcnt vmcnt(0)
	global_atomic_add_x2 v[0:1], v[2:3], off offset:8
.LBB1_153:
	s_or_b64 exec, exec, s[20:21]
	s_waitcnt vmcnt(0)
	global_load_dwordx2 v[2:3], v[0:1], off offset:16
	s_waitcnt vmcnt(0)
	v_cmp_eq_u64_e32 vcc, 0, v[2:3]
	s_cbranch_vccnz .LBB1_155
; %bb.154:
	global_load_dword v0, v[0:1], off offset:24
	v_mov_b32_e32 v1, 0
	s_waitcnt vmcnt(0)
	v_readfirstlane_b32 s18, v0
	s_and_b32 m0, s18, 0xffffff
	global_store_dwordx2 v[2:3], v[0:1], off
	s_sendmsg sendmsg(MSG_INTERRUPT)
.LBB1_155:
	s_or_b64 exec, exec, s[16:17]
	s_branch .LBB1_159
.LBB1_156:                              ;   in Loop: Header=BB1_159 Depth=1
	s_or_b64 exec, exec, s[16:17]
	v_readfirstlane_b32 s16, v0
	s_cmp_eq_u32 s16, 0
	s_cbranch_scc1 .LBB1_158
; %bb.157:                              ;   in Loop: Header=BB1_159 Depth=1
	s_sleep 1
	s_cbranch_execnz .LBB1_159
	s_branch .LBB1_161
.LBB1_158:
	s_branch .LBB1_161
.LBB1_159:                              ; =>This Inner Loop Header: Depth=1
	v_mov_b32_e32 v0, 1
	s_and_saveexec_b64 s[16:17], s[6:7]
	s_cbranch_execz .LBB1_156
; %bb.160:                              ;   in Loop: Header=BB1_159 Depth=1
	global_load_dword v0, v[10:11], off offset:20 glc
	s_waitcnt vmcnt(0)
	buffer_wbinvl1_vol
	v_and_b32_e32 v0, 1, v0
	s_branch .LBB1_156
.LBB1_161:
	global_load_dwordx2 v[0:1], v[8:9], off
	s_and_saveexec_b64 s[16:17], s[6:7]
	s_cbranch_execz .LBB1_164
; %bb.162:
	v_mov_b32_e32 v8, 0
	global_load_dwordx2 v[2:3], v8, s[12:13] offset:40
	global_load_dwordx2 v[11:12], v8, s[12:13] offset:24 glc
	global_load_dwordx2 v[4:5], v8, s[12:13]
	s_waitcnt vmcnt(2)
	v_readfirstlane_b32 s18, v2
	v_readfirstlane_b32 s19, v3
	s_add_u32 s20, s18, 1
	s_addc_u32 s21, s19, 0
	s_add_u32 s6, s20, s14
	s_addc_u32 s7, s21, s15
	s_cmp_eq_u64 s[6:7], 0
	s_cselect_b32 s7, s21, s7
	s_cselect_b32 s6, s20, s6
	s_and_b64 s[14:15], s[6:7], s[18:19]
	s_mul_i32 s15, s15, 24
	s_mul_hi_u32 s18, s14, 24
	s_mul_i32 s14, s14, 24
	s_add_i32 s15, s18, s15
	v_mov_b32_e32 v2, s15
	s_waitcnt vmcnt(0)
	v_add_co_u32_e32 v6, vcc, s14, v4
	v_addc_co_u32_e32 v7, vcc, v5, v2, vcc
	v_mov_b32_e32 v9, s6
	global_store_dwordx2 v[6:7], v[11:12], off
	v_mov_b32_e32 v10, s7
	s_waitcnt vmcnt(0)
	global_atomic_cmpswap_x2 v[4:5], v8, v[9:12], s[12:13] offset:24 glc
	s_mov_b64 s[14:15], 0
	s_waitcnt vmcnt(0)
	v_cmp_ne_u64_e32 vcc, v[4:5], v[11:12]
	s_and_b64 exec, exec, vcc
	s_cbranch_execz .LBB1_164
.LBB1_163:                              ; =>This Inner Loop Header: Depth=1
	s_sleep 1
	global_store_dwordx2 v[6:7], v[4:5], off
	v_mov_b32_e32 v2, s6
	v_mov_b32_e32 v3, s7
	s_waitcnt vmcnt(0)
	global_atomic_cmpswap_x2 v[2:3], v8, v[2:5], s[12:13] offset:24 glc
	s_waitcnt vmcnt(0)
	v_cmp_eq_u64_e32 vcc, v[2:3], v[4:5]
	v_mov_b32_e32 v5, v3
	s_or_b64 s[14:15], vcc, s[14:15]
	v_mov_b32_e32 v4, v2
	s_andn2_b64 exec, exec, s[14:15]
	s_cbranch_execnz .LBB1_163
.LBB1_164:
	s_or_b64 exec, exec, s[16:17]
	v_readfirstlane_b32 s6, v31
	v_mov_b32_e32 v8, 0
	v_mov_b32_e32 v9, 0
	v_cmp_eq_u32_e64 s[6:7], s6, v31
	s_and_saveexec_b64 s[14:15], s[6:7]
	s_cbranch_execz .LBB1_170
; %bb.165:
	v_mov_b32_e32 v2, 0
	global_load_dwordx2 v[5:6], v2, s[12:13] offset:24 glc
	s_waitcnt vmcnt(0)
	buffer_wbinvl1_vol
	global_load_dwordx2 v[3:4], v2, s[12:13] offset:40
	global_load_dwordx2 v[7:8], v2, s[12:13]
	s_waitcnt vmcnt(1)
	v_and_b32_e32 v3, v3, v5
	v_and_b32_e32 v4, v4, v6
	v_mul_lo_u32 v4, v4, 24
	v_mul_hi_u32 v9, v3, 24
	v_mul_lo_u32 v3, v3, 24
	v_add_u32_e32 v4, v9, v4
	s_waitcnt vmcnt(0)
	v_add_co_u32_e32 v3, vcc, v7, v3
	v_addc_co_u32_e32 v4, vcc, v8, v4, vcc
	global_load_dwordx2 v[3:4], v[3:4], off glc
	s_waitcnt vmcnt(0)
	global_atomic_cmpswap_x2 v[8:9], v2, v[3:6], s[12:13] offset:24 glc
	s_waitcnt vmcnt(0)
	buffer_wbinvl1_vol
	v_cmp_ne_u64_e32 vcc, v[8:9], v[5:6]
	s_and_saveexec_b64 s[16:17], vcc
	s_cbranch_execz .LBB1_169
; %bb.166:
	s_mov_b64 s[18:19], 0
.LBB1_167:                              ; =>This Inner Loop Header: Depth=1
	s_sleep 1
	global_load_dwordx2 v[3:4], v2, s[12:13] offset:40
	global_load_dwordx2 v[10:11], v2, s[12:13]
	v_mov_b32_e32 v5, v8
	v_mov_b32_e32 v6, v9
	s_waitcnt vmcnt(1)
	v_and_b32_e32 v3, v3, v5
	s_waitcnt vmcnt(0)
	v_mad_u64_u32 v[7:8], s[20:21], v3, 24, v[10:11]
	v_and_b32_e32 v4, v4, v6
	v_mov_b32_e32 v3, v8
	v_mad_u64_u32 v[3:4], s[20:21], v4, 24, v[3:4]
	v_mov_b32_e32 v8, v3
	global_load_dwordx2 v[3:4], v[7:8], off glc
	s_waitcnt vmcnt(0)
	global_atomic_cmpswap_x2 v[8:9], v2, v[3:6], s[12:13] offset:24 glc
	s_waitcnt vmcnt(0)
	buffer_wbinvl1_vol
	v_cmp_eq_u64_e32 vcc, v[8:9], v[5:6]
	s_or_b64 s[18:19], vcc, s[18:19]
	s_andn2_b64 exec, exec, s[18:19]
	s_cbranch_execnz .LBB1_167
; %bb.168:
	s_or_b64 exec, exec, s[18:19]
.LBB1_169:
	s_or_b64 exec, exec, s[16:17]
.LBB1_170:
	s_or_b64 exec, exec, s[14:15]
	v_mov_b32_e32 v3, 0
	global_load_dwordx2 v[10:11], v3, s[12:13] offset:40
	global_load_dwordx4 v[4:7], v3, s[12:13]
	v_readfirstlane_b32 s15, v9
	v_readfirstlane_b32 s14, v8
	s_mov_b64 s[16:17], exec
	s_waitcnt vmcnt(1)
	v_readfirstlane_b32 s18, v10
	v_readfirstlane_b32 s19, v11
	s_and_b64 s[18:19], s[18:19], s[14:15]
	s_mul_i32 s20, s19, 24
	s_mul_hi_u32 s21, s18, 24
	s_mul_i32 s22, s18, 24
	s_add_i32 s20, s21, s20
	v_mov_b32_e32 v2, s20
	s_waitcnt vmcnt(0)
	v_add_co_u32_e32 v8, vcc, s22, v4
	v_addc_co_u32_e32 v9, vcc, v5, v2, vcc
	s_and_saveexec_b64 s[20:21], s[6:7]
	s_cbranch_execz .LBB1_172
; %bb.171:
	v_mov_b32_e32 v10, s16
	v_mov_b32_e32 v11, s17
	;; [unrolled: 1-line block ×4, first 2 shown]
	global_store_dwordx4 v[8:9], v[10:13], off offset:8
.LBB1_172:
	s_or_b64 exec, exec, s[20:21]
	s_lshl_b64 s[16:17], s[18:19], 12
	v_mov_b32_e32 v2, s17
	v_add_co_u32_e32 v6, vcc, s16, v6
	v_addc_co_u32_e32 v7, vcc, v7, v2, vcc
	s_movk_i32 s16, 0xff1d
	v_and_or_b32 v0, v0, s16, 34
	s_mov_b32 s16, 0
	v_mov_b32_e32 v2, 4
	v_readfirstlane_b32 s20, v6
	v_readfirstlane_b32 s21, v7
	s_mov_b32 s17, s16
	s_mov_b32 s18, s16
	;; [unrolled: 1-line block ×3, first 2 shown]
	s_nop 1
	global_store_dwordx4 v30, v[0:3], s[20:21]
	s_nop 0
	v_mov_b32_e32 v0, s16
	v_mov_b32_e32 v1, s17
	;; [unrolled: 1-line block ×4, first 2 shown]
	global_store_dwordx4 v30, v[0:3], s[20:21] offset:16
	global_store_dwordx4 v30, v[0:3], s[20:21] offset:32
	;; [unrolled: 1-line block ×3, first 2 shown]
	s_and_saveexec_b64 s[16:17], s[6:7]
	s_cbranch_execz .LBB1_180
; %bb.173:
	v_mov_b32_e32 v6, 0
	global_load_dwordx2 v[12:13], v6, s[12:13] offset:32 glc
	global_load_dwordx2 v[0:1], v6, s[12:13] offset:40
	v_mov_b32_e32 v10, s14
	v_mov_b32_e32 v11, s15
	s_waitcnt vmcnt(0)
	v_readfirstlane_b32 s18, v0
	v_readfirstlane_b32 s19, v1
	s_and_b64 s[18:19], s[18:19], s[14:15]
	s_mul_i32 s19, s19, 24
	s_mul_hi_u32 s20, s18, 24
	s_mul_i32 s18, s18, 24
	s_add_i32 s19, s20, s19
	v_mov_b32_e32 v0, s19
	v_add_co_u32_e32 v4, vcc, s18, v4
	v_addc_co_u32_e32 v5, vcc, v5, v0, vcc
	global_store_dwordx2 v[4:5], v[12:13], off
	s_waitcnt vmcnt(0)
	global_atomic_cmpswap_x2 v[2:3], v6, v[10:13], s[12:13] offset:32 glc
	s_waitcnt vmcnt(0)
	v_cmp_ne_u64_e32 vcc, v[2:3], v[12:13]
	s_and_saveexec_b64 s[18:19], vcc
	s_cbranch_execz .LBB1_176
; %bb.174:
	s_mov_b64 s[20:21], 0
.LBB1_175:                              ; =>This Inner Loop Header: Depth=1
	s_sleep 1
	global_store_dwordx2 v[4:5], v[2:3], off
	v_mov_b32_e32 v0, s14
	v_mov_b32_e32 v1, s15
	s_waitcnt vmcnt(0)
	global_atomic_cmpswap_x2 v[0:1], v6, v[0:3], s[12:13] offset:32 glc
	s_waitcnt vmcnt(0)
	v_cmp_eq_u64_e32 vcc, v[0:1], v[2:3]
	v_mov_b32_e32 v3, v1
	s_or_b64 s[20:21], vcc, s[20:21]
	v_mov_b32_e32 v2, v0
	s_andn2_b64 exec, exec, s[20:21]
	s_cbranch_execnz .LBB1_175
.LBB1_176:
	s_or_b64 exec, exec, s[18:19]
	v_mov_b32_e32 v3, 0
	global_load_dwordx2 v[0:1], v3, s[12:13] offset:16
	s_mov_b64 s[18:19], exec
	v_mbcnt_lo_u32_b32 v2, s18, 0
	v_mbcnt_hi_u32_b32 v2, s19, v2
	v_cmp_eq_u32_e32 vcc, 0, v2
	s_and_saveexec_b64 s[20:21], vcc
	s_cbranch_execz .LBB1_178
; %bb.177:
	s_bcnt1_i32_b64 s18, s[18:19]
	v_mov_b32_e32 v2, s18
	s_waitcnt vmcnt(0)
	global_atomic_add_x2 v[0:1], v[2:3], off offset:8
.LBB1_178:
	s_or_b64 exec, exec, s[20:21]
	s_waitcnt vmcnt(0)
	global_load_dwordx2 v[2:3], v[0:1], off offset:16
	s_waitcnt vmcnt(0)
	v_cmp_eq_u64_e32 vcc, 0, v[2:3]
	s_cbranch_vccnz .LBB1_180
; %bb.179:
	global_load_dword v0, v[0:1], off offset:24
	v_mov_b32_e32 v1, 0
	s_waitcnt vmcnt(0)
	v_readfirstlane_b32 s18, v0
	s_and_b32 m0, s18, 0xffffff
	global_store_dwordx2 v[2:3], v[0:1], off
	s_sendmsg sendmsg(MSG_INTERRUPT)
.LBB1_180:
	s_or_b64 exec, exec, s[16:17]
	s_branch .LBB1_184
.LBB1_181:                              ;   in Loop: Header=BB1_184 Depth=1
	s_or_b64 exec, exec, s[16:17]
	v_readfirstlane_b32 s16, v0
	s_cmp_eq_u32 s16, 0
	s_cbranch_scc1 .LBB1_183
; %bb.182:                              ;   in Loop: Header=BB1_184 Depth=1
	s_sleep 1
	s_cbranch_execnz .LBB1_184
	s_branch .LBB1_186
.LBB1_183:
	s_branch .LBB1_186
.LBB1_184:                              ; =>This Inner Loop Header: Depth=1
	v_mov_b32_e32 v0, 1
	s_and_saveexec_b64 s[16:17], s[6:7]
	s_cbranch_execz .LBB1_181
; %bb.185:                              ;   in Loop: Header=BB1_184 Depth=1
	global_load_dword v0, v[8:9], off offset:20 glc
	s_waitcnt vmcnt(0)
	buffer_wbinvl1_vol
	v_and_b32_e32 v0, 1, v0
	s_branch .LBB1_181
.LBB1_186:
	s_and_b64 exec, exec, s[6:7]
	s_cbranch_execz .LBB1_189
; %bb.187:
	v_mov_b32_e32 v6, 0
	global_load_dwordx2 v[0:1], v6, s[12:13] offset:40
	global_load_dwordx2 v[9:10], v6, s[12:13] offset:24 glc
	global_load_dwordx2 v[2:3], v6, s[12:13]
	s_waitcnt vmcnt(2)
	v_readfirstlane_b32 s16, v0
	v_readfirstlane_b32 s17, v1
	s_add_u32 s18, s16, 1
	s_addc_u32 s19, s17, 0
	s_add_u32 s6, s18, s14
	s_addc_u32 s7, s19, s15
	s_cmp_eq_u64 s[6:7], 0
	s_cselect_b32 s7, s19, s7
	s_cselect_b32 s6, s18, s6
	s_and_b64 s[14:15], s[6:7], s[16:17]
	s_mul_i32 s15, s15, 24
	s_mul_hi_u32 s16, s14, 24
	s_mul_i32 s14, s14, 24
	s_add_i32 s15, s16, s15
	v_mov_b32_e32 v0, s15
	s_waitcnt vmcnt(0)
	v_add_co_u32_e32 v4, vcc, s14, v2
	v_addc_co_u32_e32 v5, vcc, v3, v0, vcc
	v_mov_b32_e32 v7, s6
	global_store_dwordx2 v[4:5], v[9:10], off
	v_mov_b32_e32 v8, s7
	s_waitcnt vmcnt(0)
	global_atomic_cmpswap_x2 v[2:3], v6, v[7:10], s[12:13] offset:24 glc
	s_mov_b64 s[14:15], 0
	s_waitcnt vmcnt(0)
	v_cmp_ne_u64_e32 vcc, v[2:3], v[9:10]
	s_and_b64 exec, exec, vcc
	s_cbranch_execz .LBB1_189
.LBB1_188:                              ; =>This Inner Loop Header: Depth=1
	s_sleep 1
	global_store_dwordx2 v[4:5], v[2:3], off
	v_mov_b32_e32 v0, s6
	v_mov_b32_e32 v1, s7
	s_waitcnt vmcnt(0)
	global_atomic_cmpswap_x2 v[0:1], v6, v[0:3], s[12:13] offset:24 glc
	s_waitcnt vmcnt(0)
	v_cmp_eq_u64_e32 vcc, v[0:1], v[2:3]
	v_mov_b32_e32 v3, v1
	s_or_b64 s[14:15], vcc, s[14:15]
	v_mov_b32_e32 v2, v0
	s_andn2_b64 exec, exec, s[14:15]
	s_cbranch_execnz .LBB1_188
.LBB1_189:
	s_or_b64 exec, exec, s[10:11]
	s_waitcnt vmcnt(0) lgkmcnt(0)
	s_barrier
	s_load_dword s12, s[4:5], 0x8
	s_load_dwordx2 s[6:7], s[4:5], 0x0
	v_and_b32_e32 v0, 3, v29
	s_waitcnt lgkmcnt(0)
	s_cmp_lt_i32 s12, 1
	s_cbranch_scc1 .LBB1_197
; %bb.190:
	s_cmp_lt_i32 s12, 2
	s_cbranch_scc1 .LBB1_198
; %bb.191:
	s_cmp_eq_u32 s12, 2
                                        ; implicit-def: $vgpr2
	s_cbranch_scc0 .LBB1_396
; %bb.192:
	s_mov_b64 s[4:5], src_private_base
	s_mov_b32 s4, 0
	v_mov_b32_e32 v1, s4
	v_mov_b32_e32 v2, s5
	flat_store_dword v[1:2], v0
	s_waitcnt vmcnt(0)
	flat_load_dword v3, v[1:2] glc
	s_waitcnt vmcnt(0)
	v_mbcnt_lo_u32_b32 v1, -1, 0
	v_mbcnt_hi_u32_b32 v1, -1, v1
	v_and_b32_e32 v2, 0x7c, v1
	v_add_u32_e32 v4, -1, v1
	v_cmp_lt_i32_e32 vcc, v4, v2
	v_cndmask_b32_e32 v4, v4, v1, vcc
	v_lshlrev_b32_e32 v4, 2, v4
	v_cmp_ne_u32_e32 vcc, 0, v0
	s_waitcnt lgkmcnt(0)
	ds_bpermute_b32 v3, v4, v3
	s_and_saveexec_b64 s[10:11], vcc
	s_cbranch_execz .LBB1_194
; %bb.193:
	v_mov_b32_e32 v4, s4
	v_mov_b32_e32 v5, s5
	flat_load_dword v6, v[4:5] glc
	s_waitcnt vmcnt(0) lgkmcnt(0)
	v_add_u32_e32 v3, v6, v3
	flat_store_dword v[4:5], v3
	s_waitcnt vmcnt(0)
.LBB1_194:
	s_or_b64 exec, exec, s[10:11]
	s_waitcnt lgkmcnt(0)
	v_mov_b32_e32 v3, s4
	v_mov_b32_e32 v4, s5
	flat_load_dword v3, v[3:4] glc
	s_waitcnt vmcnt(0)
	v_add_u32_e32 v4, -2, v1
	v_cmp_lt_i32_e32 vcc, v4, v2
	v_cndmask_b32_e32 v1, v4, v1, vcc
	v_lshlrev_b32_e32 v1, 2, v1
	v_cmp_lt_u32_e32 vcc, 1, v0
	s_waitcnt lgkmcnt(0)
	ds_bpermute_b32 v1, v1, v3
	s_and_saveexec_b64 s[10:11], vcc
	s_cbranch_execz .LBB1_196
; %bb.195:
	v_mov_b32_e32 v2, s4
	v_mov_b32_e32 v3, s5
	flat_load_dword v4, v[2:3] glc
	s_waitcnt vmcnt(0) lgkmcnt(0)
	v_add_u32_e32 v1, v4, v1
	flat_store_dword v[2:3], v1
	s_waitcnt vmcnt(0)
.LBB1_196:
	s_or_b64 exec, exec, s[10:11]
	s_waitcnt lgkmcnt(0)
	v_mov_b32_e32 v1, s4
	v_mov_b32_e32 v2, s5
	flat_load_dword v2, v[1:2] glc
	s_waitcnt vmcnt(0)
	v_mov_b32_e32 v30, 0
	v_lshlrev_b64 v[3:4], 2, v[29:30]
	v_mov_b32_e32 v1, s7
	v_add_co_u32_e32 v3, vcc, s6, v3
	v_addc_co_u32_e32 v4, vcc, v1, v4, vcc
	s_waitcnt lgkmcnt(0)
	global_store_dword v[3:4], v2, off
	s_cbranch_execz .LBB1_199
	s_branch .LBB1_200
.LBB1_197:
                                        ; implicit-def: $vgpr2
	s_branch .LBB1_201
.LBB1_198:
                                        ; implicit-def: $vgpr2
.LBB1_199:
	v_mbcnt_lo_u32_b32 v1, -1, 0
	v_mbcnt_hi_u32_b32 v1, -1, v1
	v_and_b32_e32 v2, 0x7c, v1
	v_add_u32_e32 v2, 4, v2
	v_xor_b32_e32 v3, 2, v1
	v_cmp_lt_i32_e32 vcc, v3, v2
	v_cndmask_b32_e32 v3, v1, v3, vcc
	v_lshlrev_b32_e32 v3, 2, v3
	ds_bpermute_b32 v3, v3, v0
	v_xor_b32_e32 v4, 1, v1
	v_cmp_lt_i32_e32 vcc, v4, v2
	v_cndmask_b32_e32 v1, v1, v4, vcc
	v_lshlrev_b32_e32 v1, 2, v1
	s_waitcnt lgkmcnt(0)
	v_add_u32_e32 v3, v3, v0
	ds_bpermute_b32 v1, v1, v3
	v_cmp_eq_u32_e32 vcc, 0, v0
	s_waitcnt lgkmcnt(0)
	v_add_u32_e32 v1, v1, v3
	v_cndmask_b32_e32 v2, -1, v1, vcc
.LBB1_200:
	s_cbranch_execnz .LBB1_205
.LBB1_201:
	s_cmp_lg_u32 s12, 0
                                        ; implicit-def: $vgpr2
	s_cbranch_scc1 .LBB1_205
; %bb.202:
	s_mov_b64 s[4:5], src_private_base
	s_mov_b32 s4, 4
	v_mov_b32_e32 v3, s4
	v_mov_b32_e32 v4, s5
	flat_store_dword v[3:4], v0
	s_waitcnt vmcnt(0)
	flat_load_dword v1, v[3:4] glc
	s_waitcnt vmcnt(0)
	flat_load_dword v2, v[3:4] glc
	s_waitcnt vmcnt(0)
	v_mbcnt_lo_u32_b32 v5, -1, 0
	v_mbcnt_hi_u32_b32 v5, -1, v5
	v_lshl_or_b32 v6, v5, 2, 8
	s_waitcnt lgkmcnt(0)
	ds_bpermute_b32 v1, v6, v1
	s_waitcnt lgkmcnt(0)
	v_add_u32_e32 v1, v2, v1
	flat_store_dword v[3:4], v1
	s_waitcnt vmcnt(0)
	flat_load_dword v1, v[3:4] glc
	s_waitcnt vmcnt(0)
	flat_load_dword v6, v[3:4] glc
	s_waitcnt vmcnt(0)
	v_and_b32_e32 v2, 3, v5
	v_cmp_ne_u32_e32 vcc, 3, v2
	v_addc_co_u32_e32 v2, vcc, 0, v5, vcc
	v_lshlrev_b32_e32 v2, 2, v2
	v_cmp_eq_u32_e32 vcc, 0, v0
	s_waitcnt lgkmcnt(0)
	ds_bpermute_b32 v1, v2, v1
	v_mov_b32_e32 v2, -1
	s_waitcnt lgkmcnt(0)
	v_add_u32_e32 v1, v6, v1
	flat_store_dword v[3:4], v1
	s_waitcnt vmcnt(0)
	s_and_saveexec_b64 s[10:11], vcc
	s_cbranch_execz .LBB1_204
; %bb.203:
	v_mov_b32_e32 v1, s4
	v_mov_b32_e32 v2, s5
	flat_load_dword v2, v[1:2] glc
	s_waitcnt vmcnt(0)
.LBB1_204:
	s_or_b64 exec, exec, s[10:11]
.LBB1_205:
	s_cmp_lg_u32 s12, 2
	v_cmp_eq_u32_e32 vcc, 0, v0
	s_cselect_b64 s[4:5], -1, 0
	s_and_b64 s[4:5], s[4:5], vcc
	s_and_saveexec_b64 s[10:11], s[4:5]
	s_cbranch_execz .LBB1_395
; %bb.206:
	s_load_dwordx2 s[8:9], s[8:9], 0x50
	v_mbcnt_lo_u32_b32 v0, -1, 0
	v_mbcnt_hi_u32_b32 v33, -1, v0
	v_readfirstlane_b32 s4, v33
	v_mov_b32_e32 v0, 0
	v_mov_b32_e32 v1, 0
	v_cmp_eq_u32_e64 s[4:5], s4, v33
	s_and_saveexec_b64 s[10:11], s[4:5]
	s_cbranch_execz .LBB1_212
; %bb.207:
	v_mov_b32_e32 v3, 0
	s_waitcnt lgkmcnt(0)
	global_load_dwordx2 v[6:7], v3, s[8:9] offset:24 glc
	s_waitcnt vmcnt(0)
	buffer_wbinvl1_vol
	global_load_dwordx2 v[0:1], v3, s[8:9] offset:40
	global_load_dwordx2 v[4:5], v3, s[8:9]
	s_waitcnt vmcnt(1)
	v_and_b32_e32 v0, v0, v6
	v_and_b32_e32 v1, v1, v7
	v_mul_lo_u32 v1, v1, 24
	v_mul_hi_u32 v8, v0, 24
	v_mul_lo_u32 v0, v0, 24
	v_add_u32_e32 v1, v8, v1
	s_waitcnt vmcnt(0)
	v_add_co_u32_e32 v0, vcc, v4, v0
	v_addc_co_u32_e32 v1, vcc, v5, v1, vcc
	global_load_dwordx2 v[4:5], v[0:1], off glc
	s_waitcnt vmcnt(0)
	global_atomic_cmpswap_x2 v[0:1], v3, v[4:7], s[8:9] offset:24 glc
	s_waitcnt vmcnt(0)
	buffer_wbinvl1_vol
	v_cmp_ne_u64_e32 vcc, v[0:1], v[6:7]
	s_and_saveexec_b64 s[12:13], vcc
	s_cbranch_execz .LBB1_211
; %bb.208:
	s_mov_b64 s[14:15], 0
.LBB1_209:                              ; =>This Inner Loop Header: Depth=1
	s_sleep 1
	global_load_dwordx2 v[4:5], v3, s[8:9] offset:40
	global_load_dwordx2 v[8:9], v3, s[8:9]
	v_mov_b32_e32 v7, v1
	v_mov_b32_e32 v6, v0
	s_waitcnt vmcnt(1)
	v_and_b32_e32 v0, v4, v6
	s_waitcnt vmcnt(0)
	v_mad_u64_u32 v[0:1], s[16:17], v0, 24, v[8:9]
	v_and_b32_e32 v4, v5, v7
	v_mad_u64_u32 v[4:5], s[16:17], v4, 24, v[1:2]
	v_mov_b32_e32 v1, v4
	global_load_dwordx2 v[4:5], v[0:1], off glc
	s_waitcnt vmcnt(0)
	global_atomic_cmpswap_x2 v[0:1], v3, v[4:7], s[8:9] offset:24 glc
	s_waitcnt vmcnt(0)
	buffer_wbinvl1_vol
	v_cmp_eq_u64_e32 vcc, v[0:1], v[6:7]
	s_or_b64 s[14:15], vcc, s[14:15]
	s_andn2_b64 exec, exec, s[14:15]
	s_cbranch_execnz .LBB1_209
; %bb.210:
	s_or_b64 exec, exec, s[14:15]
.LBB1_211:
	s_or_b64 exec, exec, s[12:13]
.LBB1_212:
	s_or_b64 exec, exec, s[10:11]
	v_mov_b32_e32 v7, 0
	s_waitcnt lgkmcnt(0)
	global_load_dwordx2 v[8:9], v7, s[8:9] offset:40
	global_load_dwordx4 v[3:6], v7, s[8:9]
	v_readfirstlane_b32 s11, v1
	v_readfirstlane_b32 s10, v0
	s_mov_b64 s[12:13], exec
	s_waitcnt vmcnt(1)
	v_readfirstlane_b32 s14, v8
	v_readfirstlane_b32 s15, v9
	s_and_b64 s[14:15], s[14:15], s[10:11]
	s_mul_i32 s16, s15, 24
	s_mul_hi_u32 s17, s14, 24
	s_mul_i32 s18, s14, 24
	s_add_i32 s16, s17, s16
	v_mov_b32_e32 v1, s16
	s_waitcnt vmcnt(0)
	v_add_co_u32_e32 v0, vcc, s18, v3
	v_addc_co_u32_e32 v1, vcc, v4, v1, vcc
	s_and_saveexec_b64 s[16:17], s[4:5]
	s_cbranch_execz .LBB1_214
; %bb.213:
	v_mov_b32_e32 v8, s12
	v_mov_b32_e32 v9, s13
	v_mov_b32_e32 v10, 2
	v_mov_b32_e32 v11, 1
	global_store_dwordx4 v[0:1], v[8:11], off offset:8
.LBB1_214:
	s_or_b64 exec, exec, s[16:17]
	s_lshl_b64 s[12:13], s[14:15], 12
	v_mov_b32_e32 v8, s13
	v_add_co_u32_e32 v5, vcc, s12, v5
	v_addc_co_u32_e32 v12, vcc, v6, v8, vcc
	v_lshlrev_b32_e32 v32, 6, v33
	s_mov_b32 s12, 0
	v_mov_b32_e32 v6, 33
	v_mov_b32_e32 v8, v7
	;; [unrolled: 1-line block ×3, first 2 shown]
	v_readfirstlane_b32 s16, v5
	v_readfirstlane_b32 s17, v12
	v_add_co_u32_e32 v10, vcc, v5, v32
	s_mov_b32 s13, s12
	s_mov_b32 s14, s12
	;; [unrolled: 1-line block ×3, first 2 shown]
	s_nop 0
	global_store_dwordx4 v32, v[6:9], s[16:17]
	v_mov_b32_e32 v5, s12
	v_addc_co_u32_e32 v11, vcc, 0, v12, vcc
	v_mov_b32_e32 v6, s13
	v_mov_b32_e32 v7, s14
	;; [unrolled: 1-line block ×3, first 2 shown]
	global_store_dwordx4 v32, v[5:8], s[16:17] offset:16
	global_store_dwordx4 v32, v[5:8], s[16:17] offset:32
	global_store_dwordx4 v32, v[5:8], s[16:17] offset:48
	s_and_saveexec_b64 s[12:13], s[4:5]
	s_cbranch_execz .LBB1_222
; %bb.215:
	v_mov_b32_e32 v9, 0
	global_load_dwordx2 v[14:15], v9, s[8:9] offset:32 glc
	global_load_dwordx2 v[5:6], v9, s[8:9] offset:40
	v_mov_b32_e32 v12, s10
	v_mov_b32_e32 v13, s11
	s_waitcnt vmcnt(0)
	v_and_b32_e32 v5, s10, v5
	v_and_b32_e32 v6, s11, v6
	v_mul_lo_u32 v6, v6, 24
	v_mul_hi_u32 v7, v5, 24
	v_mul_lo_u32 v5, v5, 24
	v_add_u32_e32 v6, v7, v6
	v_add_co_u32_e32 v7, vcc, v3, v5
	v_addc_co_u32_e32 v8, vcc, v4, v6, vcc
	global_store_dwordx2 v[7:8], v[14:15], off
	s_waitcnt vmcnt(0)
	global_atomic_cmpswap_x2 v[5:6], v9, v[12:15], s[8:9] offset:32 glc
	s_waitcnt vmcnt(0)
	v_cmp_ne_u64_e32 vcc, v[5:6], v[14:15]
	s_and_saveexec_b64 s[14:15], vcc
	s_cbranch_execz .LBB1_218
; %bb.216:
	s_mov_b64 s[16:17], 0
.LBB1_217:                              ; =>This Inner Loop Header: Depth=1
	s_sleep 1
	global_store_dwordx2 v[7:8], v[5:6], off
	v_mov_b32_e32 v3, s10
	v_mov_b32_e32 v4, s11
	s_waitcnt vmcnt(0)
	global_atomic_cmpswap_x2 v[3:4], v9, v[3:6], s[8:9] offset:32 glc
	s_waitcnt vmcnt(0)
	v_cmp_eq_u64_e32 vcc, v[3:4], v[5:6]
	v_mov_b32_e32 v6, v4
	s_or_b64 s[16:17], vcc, s[16:17]
	v_mov_b32_e32 v5, v3
	s_andn2_b64 exec, exec, s[16:17]
	s_cbranch_execnz .LBB1_217
.LBB1_218:
	s_or_b64 exec, exec, s[14:15]
	v_mov_b32_e32 v6, 0
	global_load_dwordx2 v[3:4], v6, s[8:9] offset:16
	s_mov_b64 s[14:15], exec
	v_mbcnt_lo_u32_b32 v5, s14, 0
	v_mbcnt_hi_u32_b32 v5, s15, v5
	v_cmp_eq_u32_e32 vcc, 0, v5
	s_and_saveexec_b64 s[16:17], vcc
	s_cbranch_execz .LBB1_220
; %bb.219:
	s_bcnt1_i32_b64 s14, s[14:15]
	v_mov_b32_e32 v5, s14
	s_waitcnt vmcnt(0)
	global_atomic_add_x2 v[3:4], v[5:6], off offset:8
.LBB1_220:
	s_or_b64 exec, exec, s[16:17]
	s_waitcnt vmcnt(0)
	global_load_dwordx2 v[5:6], v[3:4], off offset:16
	s_waitcnt vmcnt(0)
	v_cmp_eq_u64_e32 vcc, 0, v[5:6]
	s_cbranch_vccnz .LBB1_222
; %bb.221:
	global_load_dword v3, v[3:4], off offset:24
	v_mov_b32_e32 v4, 0
	s_waitcnt vmcnt(0)
	v_readfirstlane_b32 s14, v3
	s_and_b32 m0, s14, 0xffffff
	global_store_dwordx2 v[5:6], v[3:4], off
	s_sendmsg sendmsg(MSG_INTERRUPT)
.LBB1_222:
	s_or_b64 exec, exec, s[12:13]
	s_branch .LBB1_226
.LBB1_223:                              ;   in Loop: Header=BB1_226 Depth=1
	s_or_b64 exec, exec, s[12:13]
	v_readfirstlane_b32 s12, v3
	s_cmp_eq_u32 s12, 0
	s_cbranch_scc1 .LBB1_225
; %bb.224:                              ;   in Loop: Header=BB1_226 Depth=1
	s_sleep 1
	s_cbranch_execnz .LBB1_226
	s_branch .LBB1_228
.LBB1_225:
	s_branch .LBB1_228
.LBB1_226:                              ; =>This Inner Loop Header: Depth=1
	v_mov_b32_e32 v3, 1
	s_and_saveexec_b64 s[12:13], s[4:5]
	s_cbranch_execz .LBB1_223
; %bb.227:                              ;   in Loop: Header=BB1_226 Depth=1
	global_load_dword v3, v[0:1], off offset:20 glc
	s_waitcnt vmcnt(0)
	buffer_wbinvl1_vol
	v_and_b32_e32 v3, 1, v3
	s_branch .LBB1_223
.LBB1_228:
	global_load_dwordx2 v[3:4], v[10:11], off
	s_and_saveexec_b64 s[12:13], s[4:5]
	s_cbranch_execz .LBB1_231
; %bb.229:
	v_mov_b32_e32 v9, 0
	global_load_dwordx2 v[0:1], v9, s[8:9] offset:40
	global_load_dwordx2 v[12:13], v9, s[8:9] offset:24 glc
	global_load_dwordx2 v[5:6], v9, s[8:9]
	s_waitcnt vmcnt(2)
	v_readfirstlane_b32 s14, v0
	v_readfirstlane_b32 s15, v1
	s_add_u32 s16, s14, 1
	s_addc_u32 s17, s15, 0
	s_add_u32 s4, s16, s10
	s_addc_u32 s5, s17, s11
	s_cmp_eq_u64 s[4:5], 0
	s_cselect_b32 s5, s17, s5
	s_cselect_b32 s4, s16, s4
	s_and_b64 s[10:11], s[4:5], s[14:15]
	s_mul_i32 s11, s11, 24
	s_mul_hi_u32 s14, s10, 24
	s_mul_i32 s10, s10, 24
	s_add_i32 s11, s14, s11
	v_mov_b32_e32 v1, s11
	s_waitcnt vmcnt(0)
	v_add_co_u32_e32 v0, vcc, s10, v5
	v_addc_co_u32_e32 v1, vcc, v6, v1, vcc
	v_mov_b32_e32 v10, s4
	global_store_dwordx2 v[0:1], v[12:13], off
	v_mov_b32_e32 v11, s5
	s_waitcnt vmcnt(0)
	global_atomic_cmpswap_x2 v[7:8], v9, v[10:13], s[8:9] offset:24 glc
	s_mov_b64 s[10:11], 0
	s_waitcnt vmcnt(0)
	v_cmp_ne_u64_e32 vcc, v[7:8], v[12:13]
	s_and_b64 exec, exec, vcc
	s_cbranch_execz .LBB1_231
.LBB1_230:                              ; =>This Inner Loop Header: Depth=1
	s_sleep 1
	global_store_dwordx2 v[0:1], v[7:8], off
	v_mov_b32_e32 v5, s4
	v_mov_b32_e32 v6, s5
	s_waitcnt vmcnt(0)
	global_atomic_cmpswap_x2 v[5:6], v9, v[5:8], s[8:9] offset:24 glc
	s_waitcnt vmcnt(0)
	v_cmp_eq_u64_e32 vcc, v[5:6], v[7:8]
	v_mov_b32_e32 v8, v6
	s_or_b64 s[10:11], vcc, s[10:11]
	v_mov_b32_e32 v7, v5
	s_andn2_b64 exec, exec, s[10:11]
	s_cbranch_execnz .LBB1_230
.LBB1_231:
	s_or_b64 exec, exec, s[12:13]
	s_getpc_b64 s[10:11]
	s_add_u32 s10, s10, .str.1@rel32@lo+4
	s_addc_u32 s11, s11, .str.1@rel32@hi+12
	s_cmp_lg_u64 s[10:11], 0
	s_cbranch_scc0 .LBB1_317
; %bb.232:
	s_waitcnt vmcnt(0)
	v_and_b32_e32 v34, 2, v3
	v_mov_b32_e32 v1, 0
	v_and_b32_e32 v5, -3, v3
	v_mov_b32_e32 v6, v4
	s_mov_b64 s[12:13], 58
	v_mov_b32_e32 v11, 2
	v_mov_b32_e32 v12, 1
	s_branch .LBB1_234
.LBB1_233:                              ;   in Loop: Header=BB1_234 Depth=1
	s_or_b64 exec, exec, s[18:19]
	s_sub_u32 s12, s12, s14
	s_subb_u32 s13, s13, s15
	s_add_u32 s10, s10, s14
	s_addc_u32 s11, s11, s15
	s_cmp_lg_u64 s[12:13], 0
	s_cbranch_scc0 .LBB1_316
.LBB1_234:                              ; =>This Loop Header: Depth=1
                                        ;     Child Loop BB1_237 Depth 2
                                        ;     Child Loop BB1_245 Depth 2
	;; [unrolled: 1-line block ×11, first 2 shown]
	v_cmp_lt_u64_e64 s[4:5], s[12:13], 56
	v_cmp_gt_u64_e64 s[16:17], s[12:13], 7
	s_and_b64 s[4:5], s[4:5], exec
	s_cselect_b32 s15, s13, 0
	s_cselect_b32 s14, s12, 56
	s_add_u32 s4, s10, 8
	s_addc_u32 s5, s11, 0
	s_and_b64 vcc, exec, s[16:17]
	s_cbranch_vccnz .LBB1_238
; %bb.235:                              ;   in Loop: Header=BB1_234 Depth=1
	s_cmp_eq_u64 s[12:13], 0
	s_cbranch_scc1 .LBB1_239
; %bb.236:                              ;   in Loop: Header=BB1_234 Depth=1
	v_mov_b32_e32 v7, 0
	s_lshl_b64 s[4:5], s[14:15], 3
	s_mov_b64 s[16:17], 0
	v_mov_b32_e32 v8, 0
	s_mov_b64 s[18:19], s[10:11]
.LBB1_237:                              ;   Parent Loop BB1_234 Depth=1
                                        ; =>  This Inner Loop Header: Depth=2
	global_load_ubyte v0, v1, s[18:19]
	s_waitcnt vmcnt(0)
	v_and_b32_e32 v0, 0xffff, v0
	v_lshlrev_b64 v[9:10], s16, v[0:1]
	s_add_u32 s16, s16, 8
	s_addc_u32 s17, s17, 0
	s_add_u32 s18, s18, 1
	s_addc_u32 s19, s19, 0
	v_or_b32_e32 v7, v9, v7
	s_cmp_lg_u32 s4, s16
	v_or_b32_e32 v8, v10, v8
	s_cbranch_scc1 .LBB1_237
	s_branch .LBB1_240
.LBB1_238:                              ;   in Loop: Header=BB1_234 Depth=1
	s_mov_b32 s20, 0
	s_branch .LBB1_241
.LBB1_239:                              ;   in Loop: Header=BB1_234 Depth=1
	v_mov_b32_e32 v7, 0
	v_mov_b32_e32 v8, 0
.LBB1_240:                              ;   in Loop: Header=BB1_234 Depth=1
	s_mov_b64 s[4:5], s[10:11]
	s_mov_b32 s20, 0
	s_cbranch_execnz .LBB1_242
.LBB1_241:                              ;   in Loop: Header=BB1_234 Depth=1
	global_load_dwordx2 v[7:8], v1, s[10:11]
	s_add_i32 s20, s14, -8
.LBB1_242:                              ;   in Loop: Header=BB1_234 Depth=1
	s_add_u32 s16, s4, 8
	s_addc_u32 s17, s5, 0
	s_cmp_gt_u32 s20, 7
	s_cbranch_scc1 .LBB1_246
; %bb.243:                              ;   in Loop: Header=BB1_234 Depth=1
	s_cmp_eq_u32 s20, 0
	s_cbranch_scc1 .LBB1_247
; %bb.244:                              ;   in Loop: Header=BB1_234 Depth=1
	v_mov_b32_e32 v13, 0
	s_mov_b64 s[16:17], 0
	v_mov_b32_e32 v14, 0
	s_mov_b64 s[18:19], 0
.LBB1_245:                              ;   Parent Loop BB1_234 Depth=1
                                        ; =>  This Inner Loop Header: Depth=2
	s_add_u32 s22, s4, s18
	s_addc_u32 s23, s5, s19
	global_load_ubyte v0, v1, s[22:23]
	s_add_u32 s18, s18, 1
	s_addc_u32 s19, s19, 0
	s_waitcnt vmcnt(0)
	v_and_b32_e32 v0, 0xffff, v0
	v_lshlrev_b64 v[9:10], s16, v[0:1]
	s_add_u32 s16, s16, 8
	s_addc_u32 s17, s17, 0
	v_or_b32_e32 v13, v9, v13
	s_cmp_lg_u32 s20, s18
	v_or_b32_e32 v14, v10, v14
	s_cbranch_scc1 .LBB1_245
	s_branch .LBB1_248
.LBB1_246:                              ;   in Loop: Header=BB1_234 Depth=1
                                        ; implicit-def: $vgpr13_vgpr14
	s_mov_b32 s21, 0
	s_branch .LBB1_249
.LBB1_247:                              ;   in Loop: Header=BB1_234 Depth=1
	v_mov_b32_e32 v13, 0
	v_mov_b32_e32 v14, 0
.LBB1_248:                              ;   in Loop: Header=BB1_234 Depth=1
	s_mov_b64 s[16:17], s[4:5]
	s_mov_b32 s21, 0
	s_cbranch_execnz .LBB1_250
.LBB1_249:                              ;   in Loop: Header=BB1_234 Depth=1
	global_load_dwordx2 v[13:14], v1, s[4:5]
	s_add_i32 s21, s20, -8
.LBB1_250:                              ;   in Loop: Header=BB1_234 Depth=1
	s_add_u32 s4, s16, 8
	s_addc_u32 s5, s17, 0
	s_cmp_gt_u32 s21, 7
	s_cbranch_scc1 .LBB1_254
; %bb.251:                              ;   in Loop: Header=BB1_234 Depth=1
	s_cmp_eq_u32 s21, 0
	s_cbranch_scc1 .LBB1_255
; %bb.252:                              ;   in Loop: Header=BB1_234 Depth=1
	v_mov_b32_e32 v15, 0
	s_mov_b64 s[4:5], 0
	v_mov_b32_e32 v16, 0
	s_mov_b64 s[18:19], 0
.LBB1_253:                              ;   Parent Loop BB1_234 Depth=1
                                        ; =>  This Inner Loop Header: Depth=2
	s_add_u32 s22, s16, s18
	s_addc_u32 s23, s17, s19
	global_load_ubyte v0, v1, s[22:23]
	s_add_u32 s18, s18, 1
	s_addc_u32 s19, s19, 0
	s_waitcnt vmcnt(0)
	v_and_b32_e32 v0, 0xffff, v0
	v_lshlrev_b64 v[9:10], s4, v[0:1]
	s_add_u32 s4, s4, 8
	s_addc_u32 s5, s5, 0
	v_or_b32_e32 v15, v9, v15
	s_cmp_lg_u32 s21, s18
	v_or_b32_e32 v16, v10, v16
	s_cbranch_scc1 .LBB1_253
	s_branch .LBB1_256
.LBB1_254:                              ;   in Loop: Header=BB1_234 Depth=1
	s_mov_b32 s20, 0
	s_branch .LBB1_257
.LBB1_255:                              ;   in Loop: Header=BB1_234 Depth=1
	v_mov_b32_e32 v15, 0
	v_mov_b32_e32 v16, 0
.LBB1_256:                              ;   in Loop: Header=BB1_234 Depth=1
	s_mov_b64 s[4:5], s[16:17]
	s_mov_b32 s20, 0
	s_cbranch_execnz .LBB1_258
.LBB1_257:                              ;   in Loop: Header=BB1_234 Depth=1
	global_load_dwordx2 v[15:16], v1, s[16:17]
	s_add_i32 s20, s21, -8
.LBB1_258:                              ;   in Loop: Header=BB1_234 Depth=1
	s_add_u32 s16, s4, 8
	s_addc_u32 s17, s5, 0
	s_cmp_gt_u32 s20, 7
	s_cbranch_scc1 .LBB1_262
; %bb.259:                              ;   in Loop: Header=BB1_234 Depth=1
	s_cmp_eq_u32 s20, 0
	s_cbranch_scc1 .LBB1_263
; %bb.260:                              ;   in Loop: Header=BB1_234 Depth=1
	v_mov_b32_e32 v17, 0
	s_mov_b64 s[16:17], 0
	v_mov_b32_e32 v18, 0
	s_mov_b64 s[18:19], 0
.LBB1_261:                              ;   Parent Loop BB1_234 Depth=1
                                        ; =>  This Inner Loop Header: Depth=2
	s_add_u32 s22, s4, s18
	s_addc_u32 s23, s5, s19
	global_load_ubyte v0, v1, s[22:23]
	s_add_u32 s18, s18, 1
	s_addc_u32 s19, s19, 0
	s_waitcnt vmcnt(0)
	v_and_b32_e32 v0, 0xffff, v0
	v_lshlrev_b64 v[9:10], s16, v[0:1]
	s_add_u32 s16, s16, 8
	s_addc_u32 s17, s17, 0
	v_or_b32_e32 v17, v9, v17
	s_cmp_lg_u32 s20, s18
	v_or_b32_e32 v18, v10, v18
	s_cbranch_scc1 .LBB1_261
	s_branch .LBB1_264
.LBB1_262:                              ;   in Loop: Header=BB1_234 Depth=1
                                        ; implicit-def: $vgpr17_vgpr18
	s_mov_b32 s21, 0
	s_branch .LBB1_265
.LBB1_263:                              ;   in Loop: Header=BB1_234 Depth=1
	v_mov_b32_e32 v17, 0
	v_mov_b32_e32 v18, 0
.LBB1_264:                              ;   in Loop: Header=BB1_234 Depth=1
	s_mov_b64 s[16:17], s[4:5]
	s_mov_b32 s21, 0
	s_cbranch_execnz .LBB1_266
.LBB1_265:                              ;   in Loop: Header=BB1_234 Depth=1
	global_load_dwordx2 v[17:18], v1, s[4:5]
	s_add_i32 s21, s20, -8
.LBB1_266:                              ;   in Loop: Header=BB1_234 Depth=1
	s_add_u32 s4, s16, 8
	s_addc_u32 s5, s17, 0
	s_cmp_gt_u32 s21, 7
	s_cbranch_scc1 .LBB1_270
; %bb.267:                              ;   in Loop: Header=BB1_234 Depth=1
	s_cmp_eq_u32 s21, 0
	s_cbranch_scc1 .LBB1_271
; %bb.268:                              ;   in Loop: Header=BB1_234 Depth=1
	v_mov_b32_e32 v19, 0
	s_mov_b64 s[4:5], 0
	v_mov_b32_e32 v20, 0
	s_mov_b64 s[18:19], 0
.LBB1_269:                              ;   Parent Loop BB1_234 Depth=1
                                        ; =>  This Inner Loop Header: Depth=2
	s_add_u32 s22, s16, s18
	s_addc_u32 s23, s17, s19
	global_load_ubyte v0, v1, s[22:23]
	s_add_u32 s18, s18, 1
	s_addc_u32 s19, s19, 0
	s_waitcnt vmcnt(0)
	v_and_b32_e32 v0, 0xffff, v0
	v_lshlrev_b64 v[9:10], s4, v[0:1]
	s_add_u32 s4, s4, 8
	s_addc_u32 s5, s5, 0
	v_or_b32_e32 v19, v9, v19
	s_cmp_lg_u32 s21, s18
	v_or_b32_e32 v20, v10, v20
	s_cbranch_scc1 .LBB1_269
	s_branch .LBB1_272
.LBB1_270:                              ;   in Loop: Header=BB1_234 Depth=1
	s_mov_b32 s20, 0
	s_branch .LBB1_273
.LBB1_271:                              ;   in Loop: Header=BB1_234 Depth=1
	v_mov_b32_e32 v19, 0
	v_mov_b32_e32 v20, 0
.LBB1_272:                              ;   in Loop: Header=BB1_234 Depth=1
	s_mov_b64 s[4:5], s[16:17]
	s_mov_b32 s20, 0
	s_cbranch_execnz .LBB1_274
.LBB1_273:                              ;   in Loop: Header=BB1_234 Depth=1
	global_load_dwordx2 v[19:20], v1, s[16:17]
	s_add_i32 s20, s21, -8
.LBB1_274:                              ;   in Loop: Header=BB1_234 Depth=1
	s_add_u32 s16, s4, 8
	s_addc_u32 s17, s5, 0
	s_cmp_gt_u32 s20, 7
	s_cbranch_scc1 .LBB1_278
; %bb.275:                              ;   in Loop: Header=BB1_234 Depth=1
	s_cmp_eq_u32 s20, 0
	s_cbranch_scc1 .LBB1_279
; %bb.276:                              ;   in Loop: Header=BB1_234 Depth=1
	v_mov_b32_e32 v21, 0
	s_mov_b64 s[16:17], 0
	v_mov_b32_e32 v22, 0
	s_mov_b64 s[18:19], 0
.LBB1_277:                              ;   Parent Loop BB1_234 Depth=1
                                        ; =>  This Inner Loop Header: Depth=2
	s_add_u32 s22, s4, s18
	s_addc_u32 s23, s5, s19
	global_load_ubyte v0, v1, s[22:23]
	s_add_u32 s18, s18, 1
	s_addc_u32 s19, s19, 0
	s_waitcnt vmcnt(0)
	v_and_b32_e32 v0, 0xffff, v0
	v_lshlrev_b64 v[9:10], s16, v[0:1]
	s_add_u32 s16, s16, 8
	s_addc_u32 s17, s17, 0
	v_or_b32_e32 v21, v9, v21
	s_cmp_lg_u32 s20, s18
	v_or_b32_e32 v22, v10, v22
	s_cbranch_scc1 .LBB1_277
	s_branch .LBB1_280
.LBB1_278:                              ;   in Loop: Header=BB1_234 Depth=1
                                        ; implicit-def: $vgpr21_vgpr22
	s_mov_b32 s21, 0
	s_branch .LBB1_281
.LBB1_279:                              ;   in Loop: Header=BB1_234 Depth=1
	v_mov_b32_e32 v21, 0
	v_mov_b32_e32 v22, 0
.LBB1_280:                              ;   in Loop: Header=BB1_234 Depth=1
	s_mov_b64 s[16:17], s[4:5]
	s_mov_b32 s21, 0
	s_cbranch_execnz .LBB1_282
.LBB1_281:                              ;   in Loop: Header=BB1_234 Depth=1
	global_load_dwordx2 v[21:22], v1, s[4:5]
	s_add_i32 s21, s20, -8
.LBB1_282:                              ;   in Loop: Header=BB1_234 Depth=1
	s_cmp_gt_u32 s21, 7
	s_cbranch_scc1 .LBB1_286
; %bb.283:                              ;   in Loop: Header=BB1_234 Depth=1
	s_cmp_eq_u32 s21, 0
	s_cbranch_scc1 .LBB1_287
; %bb.284:                              ;   in Loop: Header=BB1_234 Depth=1
	v_mov_b32_e32 v23, 0
	s_mov_b64 s[4:5], 0
	v_mov_b32_e32 v24, 0
	s_mov_b64 s[18:19], s[16:17]
.LBB1_285:                              ;   Parent Loop BB1_234 Depth=1
                                        ; =>  This Inner Loop Header: Depth=2
	global_load_ubyte v0, v1, s[18:19]
	s_add_i32 s21, s21, -1
	s_waitcnt vmcnt(0)
	v_and_b32_e32 v0, 0xffff, v0
	v_lshlrev_b64 v[9:10], s4, v[0:1]
	s_add_u32 s4, s4, 8
	s_addc_u32 s5, s5, 0
	s_add_u32 s18, s18, 1
	s_addc_u32 s19, s19, 0
	v_or_b32_e32 v23, v9, v23
	s_cmp_lg_u32 s21, 0
	v_or_b32_e32 v24, v10, v24
	s_cbranch_scc1 .LBB1_285
	s_branch .LBB1_288
.LBB1_286:                              ;   in Loop: Header=BB1_234 Depth=1
	s_branch .LBB1_289
.LBB1_287:                              ;   in Loop: Header=BB1_234 Depth=1
	v_mov_b32_e32 v23, 0
	v_mov_b32_e32 v24, 0
.LBB1_288:                              ;   in Loop: Header=BB1_234 Depth=1
	s_cbranch_execnz .LBB1_290
.LBB1_289:                              ;   in Loop: Header=BB1_234 Depth=1
	global_load_dwordx2 v[23:24], v1, s[16:17]
.LBB1_290:                              ;   in Loop: Header=BB1_234 Depth=1
	v_readfirstlane_b32 s4, v33
	v_mov_b32_e32 v9, 0
	v_mov_b32_e32 v10, 0
	v_cmp_eq_u32_e64 s[4:5], s4, v33
	s_and_saveexec_b64 s[16:17], s[4:5]
	s_cbranch_execz .LBB1_296
; %bb.291:                              ;   in Loop: Header=BB1_234 Depth=1
	global_load_dwordx2 v[27:28], v1, s[8:9] offset:24 glc
	s_waitcnt vmcnt(0)
	buffer_wbinvl1_vol
	global_load_dwordx2 v[9:10], v1, s[8:9] offset:40
	global_load_dwordx2 v[25:26], v1, s[8:9]
	s_waitcnt vmcnt(1)
	v_and_b32_e32 v0, v9, v27
	v_and_b32_e32 v9, v10, v28
	v_mul_lo_u32 v9, v9, 24
	v_mul_hi_u32 v10, v0, 24
	v_mul_lo_u32 v0, v0, 24
	v_add_u32_e32 v10, v10, v9
	s_waitcnt vmcnt(0)
	v_add_co_u32_e32 v9, vcc, v25, v0
	v_addc_co_u32_e32 v10, vcc, v26, v10, vcc
	global_load_dwordx2 v[25:26], v[9:10], off glc
	s_waitcnt vmcnt(0)
	global_atomic_cmpswap_x2 v[9:10], v1, v[25:28], s[8:9] offset:24 glc
	s_waitcnt vmcnt(0)
	buffer_wbinvl1_vol
	v_cmp_ne_u64_e32 vcc, v[9:10], v[27:28]
	s_and_saveexec_b64 s[18:19], vcc
	s_cbranch_execz .LBB1_295
; %bb.292:                              ;   in Loop: Header=BB1_234 Depth=1
	s_mov_b64 s[20:21], 0
.LBB1_293:                              ;   Parent Loop BB1_234 Depth=1
                                        ; =>  This Inner Loop Header: Depth=2
	s_sleep 1
	global_load_dwordx2 v[25:26], v1, s[8:9] offset:40
	global_load_dwordx2 v[30:31], v1, s[8:9]
	v_mov_b32_e32 v28, v10
	v_mov_b32_e32 v27, v9
	s_waitcnt vmcnt(1)
	v_and_b32_e32 v0, v25, v27
	s_waitcnt vmcnt(0)
	v_mad_u64_u32 v[9:10], s[22:23], v0, 24, v[30:31]
	v_and_b32_e32 v25, v26, v28
	v_mov_b32_e32 v0, v10
	v_mad_u64_u32 v[25:26], s[22:23], v25, 24, v[0:1]
	v_mov_b32_e32 v10, v25
	global_load_dwordx2 v[25:26], v[9:10], off glc
	s_waitcnt vmcnt(0)
	global_atomic_cmpswap_x2 v[9:10], v1, v[25:28], s[8:9] offset:24 glc
	s_waitcnt vmcnt(0)
	buffer_wbinvl1_vol
	v_cmp_eq_u64_e32 vcc, v[9:10], v[27:28]
	s_or_b64 s[20:21], vcc, s[20:21]
	s_andn2_b64 exec, exec, s[20:21]
	s_cbranch_execnz .LBB1_293
; %bb.294:                              ;   in Loop: Header=BB1_234 Depth=1
	s_or_b64 exec, exec, s[20:21]
.LBB1_295:                              ;   in Loop: Header=BB1_234 Depth=1
	s_or_b64 exec, exec, s[18:19]
.LBB1_296:                              ;   in Loop: Header=BB1_234 Depth=1
	s_or_b64 exec, exec, s[16:17]
	global_load_dwordx2 v[30:31], v1, s[8:9] offset:40
	global_load_dwordx4 v[25:28], v1, s[8:9]
	v_readfirstlane_b32 s17, v10
	v_readfirstlane_b32 s16, v9
	s_mov_b64 s[18:19], exec
	s_waitcnt vmcnt(1)
	v_readfirstlane_b32 s20, v30
	v_readfirstlane_b32 s21, v31
	s_and_b64 s[20:21], s[20:21], s[16:17]
	s_mul_i32 s22, s21, 24
	s_mul_hi_u32 s23, s20, 24
	s_mul_i32 s24, s20, 24
	s_add_i32 s22, s23, s22
	v_mov_b32_e32 v0, s22
	s_waitcnt vmcnt(0)
	v_add_co_u32_e32 v30, vcc, s24, v25
	v_addc_co_u32_e32 v31, vcc, v26, v0, vcc
	s_and_saveexec_b64 s[22:23], s[4:5]
	s_cbranch_execz .LBB1_298
; %bb.297:                              ;   in Loop: Header=BB1_234 Depth=1
	v_mov_b32_e32 v9, s18
	v_mov_b32_e32 v10, s19
	global_store_dwordx4 v[30:31], v[9:12], off offset:8
.LBB1_298:                              ;   in Loop: Header=BB1_234 Depth=1
	s_or_b64 exec, exec, s[22:23]
	s_lshl_b64 s[18:19], s[20:21], 12
	v_mov_b32_e32 v0, s19
	v_add_co_u32_e32 v27, vcc, s18, v27
	v_addc_co_u32_e32 v28, vcc, v28, v0, vcc
	v_cmp_lt_u64_e64 vcc, s[12:13], 57
	s_lshl_b32 s18, s14, 2
	v_cndmask_b32_e32 v0, 0, v34, vcc
	s_add_i32 s18, s18, 28
	v_and_b32_e32 v5, 0xffffff1f, v5
	s_and_b32 s18, s18, 0x1e0
	v_or_b32_e32 v0, v5, v0
	v_or_b32_e32 v5, s18, v0
	v_readfirstlane_b32 s18, v27
	v_readfirstlane_b32 s19, v28
	s_nop 4
	global_store_dwordx4 v32, v[5:8], s[18:19]
	global_store_dwordx4 v32, v[13:16], s[18:19] offset:16
	global_store_dwordx4 v32, v[17:20], s[18:19] offset:32
	;; [unrolled: 1-line block ×3, first 2 shown]
	s_and_saveexec_b64 s[18:19], s[4:5]
	s_cbranch_execz .LBB1_306
; %bb.299:                              ;   in Loop: Header=BB1_234 Depth=1
	global_load_dwordx2 v[15:16], v1, s[8:9] offset:32 glc
	global_load_dwordx2 v[5:6], v1, s[8:9] offset:40
	v_mov_b32_e32 v13, s16
	v_mov_b32_e32 v14, s17
	s_waitcnt vmcnt(0)
	v_readfirstlane_b32 s20, v5
	v_readfirstlane_b32 s21, v6
	s_and_b64 s[20:21], s[20:21], s[16:17]
	s_mul_i32 s21, s21, 24
	s_mul_hi_u32 s22, s20, 24
	s_mul_i32 s20, s20, 24
	s_add_i32 s21, s22, s21
	v_mov_b32_e32 v0, s21
	v_add_co_u32_e32 v9, vcc, s20, v25
	v_addc_co_u32_e32 v10, vcc, v26, v0, vcc
	global_store_dwordx2 v[9:10], v[15:16], off
	s_waitcnt vmcnt(0)
	global_atomic_cmpswap_x2 v[7:8], v1, v[13:16], s[8:9] offset:32 glc
	s_waitcnt vmcnt(0)
	v_cmp_ne_u64_e32 vcc, v[7:8], v[15:16]
	s_and_saveexec_b64 s[20:21], vcc
	s_cbranch_execz .LBB1_302
; %bb.300:                              ;   in Loop: Header=BB1_234 Depth=1
	s_mov_b64 s[22:23], 0
.LBB1_301:                              ;   Parent Loop BB1_234 Depth=1
                                        ; =>  This Inner Loop Header: Depth=2
	s_sleep 1
	global_store_dwordx2 v[9:10], v[7:8], off
	v_mov_b32_e32 v5, s16
	v_mov_b32_e32 v6, s17
	s_waitcnt vmcnt(0)
	global_atomic_cmpswap_x2 v[5:6], v1, v[5:8], s[8:9] offset:32 glc
	s_waitcnt vmcnt(0)
	v_cmp_eq_u64_e32 vcc, v[5:6], v[7:8]
	v_mov_b32_e32 v8, v6
	s_or_b64 s[22:23], vcc, s[22:23]
	v_mov_b32_e32 v7, v5
	s_andn2_b64 exec, exec, s[22:23]
	s_cbranch_execnz .LBB1_301
.LBB1_302:                              ;   in Loop: Header=BB1_234 Depth=1
	s_or_b64 exec, exec, s[20:21]
	global_load_dwordx2 v[5:6], v1, s[8:9] offset:16
	s_mov_b64 s[22:23], exec
	v_mbcnt_lo_u32_b32 v0, s22, 0
	v_mbcnt_hi_u32_b32 v0, s23, v0
	v_cmp_eq_u32_e32 vcc, 0, v0
	s_and_saveexec_b64 s[20:21], vcc
	s_cbranch_execz .LBB1_304
; %bb.303:                              ;   in Loop: Header=BB1_234 Depth=1
	s_bcnt1_i32_b64 s22, s[22:23]
	v_mov_b32_e32 v0, s22
	s_waitcnt vmcnt(0)
	global_atomic_add_x2 v[5:6], v[0:1], off offset:8
.LBB1_304:                              ;   in Loop: Header=BB1_234 Depth=1
	s_or_b64 exec, exec, s[20:21]
	s_waitcnt vmcnt(0)
	global_load_dwordx2 v[7:8], v[5:6], off offset:16
	s_waitcnt vmcnt(0)
	v_cmp_eq_u64_e32 vcc, 0, v[7:8]
	s_cbranch_vccnz .LBB1_306
; %bb.305:                              ;   in Loop: Header=BB1_234 Depth=1
	global_load_dword v0, v[5:6], off offset:24
	s_waitcnt vmcnt(0)
	v_readfirstlane_b32 s20, v0
	s_and_b32 m0, s20, 0xffffff
	global_store_dwordx2 v[7:8], v[0:1], off
	s_sendmsg sendmsg(MSG_INTERRUPT)
.LBB1_306:                              ;   in Loop: Header=BB1_234 Depth=1
	s_or_b64 exec, exec, s[18:19]
	v_add_co_u32_e32 v5, vcc, v27, v32
	v_addc_co_u32_e32 v6, vcc, 0, v28, vcc
	s_branch .LBB1_310
.LBB1_307:                              ;   in Loop: Header=BB1_310 Depth=2
	s_or_b64 exec, exec, s[18:19]
	v_readfirstlane_b32 s18, v0
	s_cmp_eq_u32 s18, 0
	s_cbranch_scc1 .LBB1_309
; %bb.308:                              ;   in Loop: Header=BB1_310 Depth=2
	s_sleep 1
	s_cbranch_execnz .LBB1_310
	s_branch .LBB1_312
.LBB1_309:                              ;   in Loop: Header=BB1_234 Depth=1
	s_branch .LBB1_312
.LBB1_310:                              ;   Parent Loop BB1_234 Depth=1
                                        ; =>  This Inner Loop Header: Depth=2
	v_mov_b32_e32 v0, 1
	s_and_saveexec_b64 s[18:19], s[4:5]
	s_cbranch_execz .LBB1_307
; %bb.311:                              ;   in Loop: Header=BB1_310 Depth=2
	global_load_dword v0, v[30:31], off offset:20 glc
	s_waitcnt vmcnt(0)
	buffer_wbinvl1_vol
	v_and_b32_e32 v0, 1, v0
	s_branch .LBB1_307
.LBB1_312:                              ;   in Loop: Header=BB1_234 Depth=1
	global_load_dwordx2 v[5:6], v[5:6], off
	s_and_saveexec_b64 s[18:19], s[4:5]
	s_cbranch_execz .LBB1_233
; %bb.313:                              ;   in Loop: Header=BB1_234 Depth=1
	global_load_dwordx2 v[7:8], v1, s[8:9] offset:40
	global_load_dwordx2 v[17:18], v1, s[8:9] offset:24 glc
	global_load_dwordx2 v[9:10], v1, s[8:9]
	s_waitcnt vmcnt(2)
	v_readfirstlane_b32 s20, v7
	v_readfirstlane_b32 s21, v8
	s_add_u32 s22, s20, 1
	s_addc_u32 s23, s21, 0
	s_add_u32 s4, s22, s16
	s_addc_u32 s5, s23, s17
	s_cmp_eq_u64 s[4:5], 0
	s_cselect_b32 s5, s23, s5
	s_cselect_b32 s4, s22, s4
	s_and_b64 s[16:17], s[4:5], s[20:21]
	s_mul_i32 s17, s17, 24
	s_mul_hi_u32 s20, s16, 24
	s_mul_i32 s16, s16, 24
	s_add_i32 s17, s20, s17
	v_mov_b32_e32 v0, s17
	s_waitcnt vmcnt(0)
	v_add_co_u32_e32 v13, vcc, s16, v9
	v_addc_co_u32_e32 v14, vcc, v10, v0, vcc
	v_mov_b32_e32 v15, s4
	global_store_dwordx2 v[13:14], v[17:18], off
	v_mov_b32_e32 v16, s5
	s_waitcnt vmcnt(0)
	global_atomic_cmpswap_x2 v[9:10], v1, v[15:18], s[8:9] offset:24 glc
	s_waitcnt vmcnt(0)
	v_cmp_ne_u64_e32 vcc, v[9:10], v[17:18]
	s_and_b64 exec, exec, vcc
	s_cbranch_execz .LBB1_233
; %bb.314:                              ;   in Loop: Header=BB1_234 Depth=1
	s_mov_b64 s[16:17], 0
.LBB1_315:                              ;   Parent Loop BB1_234 Depth=1
                                        ; =>  This Inner Loop Header: Depth=2
	s_sleep 1
	global_store_dwordx2 v[13:14], v[9:10], off
	v_mov_b32_e32 v7, s4
	v_mov_b32_e32 v8, s5
	s_waitcnt vmcnt(0)
	global_atomic_cmpswap_x2 v[7:8], v1, v[7:10], s[8:9] offset:24 glc
	s_waitcnt vmcnt(0)
	v_cmp_eq_u64_e32 vcc, v[7:8], v[9:10]
	v_mov_b32_e32 v10, v8
	s_or_b64 s[16:17], vcc, s[16:17]
	v_mov_b32_e32 v9, v7
	s_andn2_b64 exec, exec, s[16:17]
	s_cbranch_execnz .LBB1_315
	s_branch .LBB1_233
.LBB1_316:
	s_branch .LBB1_344
.LBB1_317:
                                        ; implicit-def: $vgpr5_vgpr6
	s_cbranch_execz .LBB1_344
; %bb.318:
	v_readfirstlane_b32 s4, v33
	v_mov_b32_e32 v0, 0
	v_mov_b32_e32 v1, 0
	v_cmp_eq_u32_e64 s[4:5], s4, v33
	s_and_saveexec_b64 s[10:11], s[4:5]
	s_cbranch_execz .LBB1_324
; %bb.319:
	s_waitcnt vmcnt(0)
	v_mov_b32_e32 v5, 0
	global_load_dwordx2 v[8:9], v5, s[8:9] offset:24 glc
	s_waitcnt vmcnt(0)
	buffer_wbinvl1_vol
	global_load_dwordx2 v[0:1], v5, s[8:9] offset:40
	global_load_dwordx2 v[6:7], v5, s[8:9]
	s_waitcnt vmcnt(1)
	v_and_b32_e32 v0, v0, v8
	v_and_b32_e32 v1, v1, v9
	v_mul_lo_u32 v1, v1, 24
	v_mul_hi_u32 v10, v0, 24
	v_mul_lo_u32 v0, v0, 24
	v_add_u32_e32 v1, v10, v1
	s_waitcnt vmcnt(0)
	v_add_co_u32_e32 v0, vcc, v6, v0
	v_addc_co_u32_e32 v1, vcc, v7, v1, vcc
	global_load_dwordx2 v[6:7], v[0:1], off glc
	s_waitcnt vmcnt(0)
	global_atomic_cmpswap_x2 v[0:1], v5, v[6:9], s[8:9] offset:24 glc
	s_waitcnt vmcnt(0)
	buffer_wbinvl1_vol
	v_cmp_ne_u64_e32 vcc, v[0:1], v[8:9]
	s_and_saveexec_b64 s[12:13], vcc
	s_cbranch_execz .LBB1_323
; %bb.320:
	s_mov_b64 s[14:15], 0
.LBB1_321:                              ; =>This Inner Loop Header: Depth=1
	s_sleep 1
	global_load_dwordx2 v[6:7], v5, s[8:9] offset:40
	global_load_dwordx2 v[10:11], v5, s[8:9]
	v_mov_b32_e32 v9, v1
	v_mov_b32_e32 v8, v0
	s_waitcnt vmcnt(1)
	v_and_b32_e32 v0, v6, v8
	s_waitcnt vmcnt(0)
	v_mad_u64_u32 v[0:1], s[16:17], v0, 24, v[10:11]
	v_and_b32_e32 v6, v7, v9
	v_mad_u64_u32 v[6:7], s[16:17], v6, 24, v[1:2]
	v_mov_b32_e32 v1, v6
	global_load_dwordx2 v[6:7], v[0:1], off glc
	s_waitcnt vmcnt(0)
	global_atomic_cmpswap_x2 v[0:1], v5, v[6:9], s[8:9] offset:24 glc
	s_waitcnt vmcnt(0)
	buffer_wbinvl1_vol
	v_cmp_eq_u64_e32 vcc, v[0:1], v[8:9]
	s_or_b64 s[14:15], vcc, s[14:15]
	s_andn2_b64 exec, exec, s[14:15]
	s_cbranch_execnz .LBB1_321
; %bb.322:
	s_or_b64 exec, exec, s[14:15]
.LBB1_323:
	s_or_b64 exec, exec, s[12:13]
.LBB1_324:
	s_or_b64 exec, exec, s[10:11]
	s_waitcnt vmcnt(0)
	v_mov_b32_e32 v5, 0
	global_load_dwordx2 v[11:12], v5, s[8:9] offset:40
	global_load_dwordx4 v[7:10], v5, s[8:9]
	v_readfirstlane_b32 s11, v1
	v_readfirstlane_b32 s10, v0
	s_mov_b64 s[12:13], exec
	s_waitcnt vmcnt(1)
	v_readfirstlane_b32 s14, v11
	v_readfirstlane_b32 s15, v12
	s_and_b64 s[14:15], s[14:15], s[10:11]
	s_mul_i32 s16, s15, 24
	s_mul_hi_u32 s17, s14, 24
	s_mul_i32 s18, s14, 24
	s_add_i32 s16, s17, s16
	v_mov_b32_e32 v1, s16
	s_waitcnt vmcnt(0)
	v_add_co_u32_e32 v0, vcc, s18, v7
	v_addc_co_u32_e32 v1, vcc, v8, v1, vcc
	s_and_saveexec_b64 s[16:17], s[4:5]
	s_cbranch_execz .LBB1_326
; %bb.325:
	v_mov_b32_e32 v11, s12
	v_mov_b32_e32 v12, s13
	;; [unrolled: 1-line block ×4, first 2 shown]
	global_store_dwordx4 v[0:1], v[11:14], off offset:8
.LBB1_326:
	s_or_b64 exec, exec, s[16:17]
	s_lshl_b64 s[12:13], s[14:15], 12
	v_mov_b32_e32 v6, s13
	v_add_co_u32_e32 v11, vcc, s12, v9
	v_addc_co_u32_e32 v12, vcc, v10, v6, vcc
	s_movk_i32 s12, 0xff1f
	v_and_or_b32 v3, v3, s12, 32
	s_mov_b32 s12, 0
	v_mov_b32_e32 v6, v5
	v_readfirstlane_b32 s16, v11
	v_readfirstlane_b32 s17, v12
	v_add_co_u32_e32 v9, vcc, v11, v32
	s_mov_b32 s13, s12
	s_mov_b32 s14, s12
	;; [unrolled: 1-line block ×3, first 2 shown]
	s_nop 0
	global_store_dwordx4 v32, v[3:6], s[16:17]
	v_addc_co_u32_e32 v10, vcc, 0, v12, vcc
	v_mov_b32_e32 v3, s12
	v_mov_b32_e32 v4, s13
	v_mov_b32_e32 v5, s14
	v_mov_b32_e32 v6, s15
	global_store_dwordx4 v32, v[3:6], s[16:17] offset:16
	global_store_dwordx4 v32, v[3:6], s[16:17] offset:32
	;; [unrolled: 1-line block ×3, first 2 shown]
	s_and_saveexec_b64 s[12:13], s[4:5]
	s_cbranch_execz .LBB1_334
; %bb.327:
	v_mov_b32_e32 v11, 0
	global_load_dwordx2 v[14:15], v11, s[8:9] offset:32 glc
	global_load_dwordx2 v[3:4], v11, s[8:9] offset:40
	v_mov_b32_e32 v12, s10
	v_mov_b32_e32 v13, s11
	s_waitcnt vmcnt(0)
	v_readfirstlane_b32 s14, v3
	v_readfirstlane_b32 s15, v4
	s_and_b64 s[14:15], s[14:15], s[10:11]
	s_mul_i32 s15, s15, 24
	s_mul_hi_u32 s16, s14, 24
	s_mul_i32 s14, s14, 24
	s_add_i32 s15, s16, s15
	v_mov_b32_e32 v3, s15
	v_add_co_u32_e32 v7, vcc, s14, v7
	v_addc_co_u32_e32 v8, vcc, v8, v3, vcc
	global_store_dwordx2 v[7:8], v[14:15], off
	s_waitcnt vmcnt(0)
	global_atomic_cmpswap_x2 v[5:6], v11, v[12:15], s[8:9] offset:32 glc
	s_waitcnt vmcnt(0)
	v_cmp_ne_u64_e32 vcc, v[5:6], v[14:15]
	s_and_saveexec_b64 s[14:15], vcc
	s_cbranch_execz .LBB1_330
; %bb.328:
	s_mov_b64 s[16:17], 0
.LBB1_329:                              ; =>This Inner Loop Header: Depth=1
	s_sleep 1
	global_store_dwordx2 v[7:8], v[5:6], off
	v_mov_b32_e32 v3, s10
	v_mov_b32_e32 v4, s11
	s_waitcnt vmcnt(0)
	global_atomic_cmpswap_x2 v[3:4], v11, v[3:6], s[8:9] offset:32 glc
	s_waitcnt vmcnt(0)
	v_cmp_eq_u64_e32 vcc, v[3:4], v[5:6]
	v_mov_b32_e32 v6, v4
	s_or_b64 s[16:17], vcc, s[16:17]
	v_mov_b32_e32 v5, v3
	s_andn2_b64 exec, exec, s[16:17]
	s_cbranch_execnz .LBB1_329
.LBB1_330:
	s_or_b64 exec, exec, s[14:15]
	v_mov_b32_e32 v6, 0
	global_load_dwordx2 v[3:4], v6, s[8:9] offset:16
	s_mov_b64 s[14:15], exec
	v_mbcnt_lo_u32_b32 v5, s14, 0
	v_mbcnt_hi_u32_b32 v5, s15, v5
	v_cmp_eq_u32_e32 vcc, 0, v5
	s_and_saveexec_b64 s[16:17], vcc
	s_cbranch_execz .LBB1_332
; %bb.331:
	s_bcnt1_i32_b64 s14, s[14:15]
	v_mov_b32_e32 v5, s14
	s_waitcnt vmcnt(0)
	global_atomic_add_x2 v[3:4], v[5:6], off offset:8
.LBB1_332:
	s_or_b64 exec, exec, s[16:17]
	s_waitcnt vmcnt(0)
	global_load_dwordx2 v[5:6], v[3:4], off offset:16
	s_waitcnt vmcnt(0)
	v_cmp_eq_u64_e32 vcc, 0, v[5:6]
	s_cbranch_vccnz .LBB1_334
; %bb.333:
	global_load_dword v3, v[3:4], off offset:24
	v_mov_b32_e32 v4, 0
	s_waitcnt vmcnt(0)
	v_readfirstlane_b32 s14, v3
	s_and_b32 m0, s14, 0xffffff
	global_store_dwordx2 v[5:6], v[3:4], off
	s_sendmsg sendmsg(MSG_INTERRUPT)
.LBB1_334:
	s_or_b64 exec, exec, s[12:13]
	s_branch .LBB1_338
.LBB1_335:                              ;   in Loop: Header=BB1_338 Depth=1
	s_or_b64 exec, exec, s[12:13]
	v_readfirstlane_b32 s12, v3
	s_cmp_eq_u32 s12, 0
	s_cbranch_scc1 .LBB1_337
; %bb.336:                              ;   in Loop: Header=BB1_338 Depth=1
	s_sleep 1
	s_cbranch_execnz .LBB1_338
	s_branch .LBB1_340
.LBB1_337:
	s_branch .LBB1_340
.LBB1_338:                              ; =>This Inner Loop Header: Depth=1
	v_mov_b32_e32 v3, 1
	s_and_saveexec_b64 s[12:13], s[4:5]
	s_cbranch_execz .LBB1_335
; %bb.339:                              ;   in Loop: Header=BB1_338 Depth=1
	global_load_dword v3, v[0:1], off offset:20 glc
	s_waitcnt vmcnt(0)
	buffer_wbinvl1_vol
	v_and_b32_e32 v3, 1, v3
	s_branch .LBB1_335
.LBB1_340:
	global_load_dwordx2 v[5:6], v[9:10], off
	s_and_saveexec_b64 s[12:13], s[4:5]
	s_cbranch_execz .LBB1_343
; %bb.341:
	v_mov_b32_e32 v3, 0
	global_load_dwordx2 v[0:1], v3, s[8:9] offset:40
	global_load_dwordx2 v[11:12], v3, s[8:9] offset:24 glc
	global_load_dwordx2 v[7:8], v3, s[8:9]
	s_waitcnt vmcnt(2)
	v_readfirstlane_b32 s14, v0
	v_readfirstlane_b32 s15, v1
	s_add_u32 s16, s14, 1
	s_addc_u32 s17, s15, 0
	s_add_u32 s4, s16, s10
	s_addc_u32 s5, s17, s11
	s_cmp_eq_u64 s[4:5], 0
	s_cselect_b32 s5, s17, s5
	s_cselect_b32 s4, s16, s4
	s_and_b64 s[10:11], s[4:5], s[14:15]
	s_mul_i32 s11, s11, 24
	s_mul_hi_u32 s14, s10, 24
	s_mul_i32 s10, s10, 24
	s_add_i32 s11, s14, s11
	v_mov_b32_e32 v1, s11
	s_waitcnt vmcnt(0)
	v_add_co_u32_e32 v0, vcc, s10, v7
	v_addc_co_u32_e32 v1, vcc, v8, v1, vcc
	v_mov_b32_e32 v9, s4
	global_store_dwordx2 v[0:1], v[11:12], off
	v_mov_b32_e32 v10, s5
	s_waitcnt vmcnt(0)
	global_atomic_cmpswap_x2 v[9:10], v3, v[9:12], s[8:9] offset:24 glc
	s_mov_b64 s[10:11], 0
	s_waitcnt vmcnt(0)
	v_cmp_ne_u64_e32 vcc, v[9:10], v[11:12]
	s_and_b64 exec, exec, vcc
	s_cbranch_execz .LBB1_343
.LBB1_342:                              ; =>This Inner Loop Header: Depth=1
	s_sleep 1
	global_store_dwordx2 v[0:1], v[9:10], off
	v_mov_b32_e32 v7, s4
	v_mov_b32_e32 v8, s5
	s_waitcnt vmcnt(0)
	global_atomic_cmpswap_x2 v[7:8], v3, v[7:10], s[8:9] offset:24 glc
	s_waitcnt vmcnt(0)
	v_cmp_eq_u64_e32 vcc, v[7:8], v[9:10]
	v_mov_b32_e32 v10, v8
	s_or_b64 s[10:11], vcc, s[10:11]
	v_mov_b32_e32 v9, v7
	s_andn2_b64 exec, exec, s[10:11]
	s_cbranch_execnz .LBB1_342
.LBB1_343:
	s_or_b64 exec, exec, s[12:13]
.LBB1_344:
	v_readfirstlane_b32 s4, v33
	v_mov_b32_e32 v0, 0
	v_mov_b32_e32 v1, 0
	v_cmp_eq_u32_e64 s[4:5], s4, v33
	s_and_saveexec_b64 s[10:11], s[4:5]
	s_cbranch_execz .LBB1_350
; %bb.345:
	s_waitcnt vmcnt(0)
	v_mov_b32_e32 v3, 0
	global_load_dwordx2 v[9:10], v3, s[8:9] offset:24 glc
	s_waitcnt vmcnt(0)
	buffer_wbinvl1_vol
	global_load_dwordx2 v[0:1], v3, s[8:9] offset:40
	global_load_dwordx2 v[7:8], v3, s[8:9]
	s_waitcnt vmcnt(1)
	v_and_b32_e32 v0, v0, v9
	v_and_b32_e32 v1, v1, v10
	v_mul_lo_u32 v1, v1, 24
	v_mul_hi_u32 v4, v0, 24
	v_mul_lo_u32 v0, v0, 24
	v_add_u32_e32 v1, v4, v1
	s_waitcnt vmcnt(0)
	v_add_co_u32_e32 v0, vcc, v7, v0
	v_addc_co_u32_e32 v1, vcc, v8, v1, vcc
	global_load_dwordx2 v[7:8], v[0:1], off glc
	s_waitcnt vmcnt(0)
	global_atomic_cmpswap_x2 v[0:1], v3, v[7:10], s[8:9] offset:24 glc
	s_waitcnt vmcnt(0)
	buffer_wbinvl1_vol
	v_cmp_ne_u64_e32 vcc, v[0:1], v[9:10]
	s_and_saveexec_b64 s[12:13], vcc
	s_cbranch_execz .LBB1_349
; %bb.346:
	s_mov_b64 s[14:15], 0
.LBB1_347:                              ; =>This Inner Loop Header: Depth=1
	s_sleep 1
	global_load_dwordx2 v[7:8], v3, s[8:9] offset:40
	global_load_dwordx2 v[11:12], v3, s[8:9]
	v_mov_b32_e32 v10, v1
	v_mov_b32_e32 v9, v0
	s_waitcnt vmcnt(1)
	v_and_b32_e32 v0, v7, v9
	s_waitcnt vmcnt(0)
	v_mad_u64_u32 v[0:1], s[16:17], v0, 24, v[11:12]
	v_and_b32_e32 v4, v8, v10
	v_mad_u64_u32 v[7:8], s[16:17], v4, 24, v[1:2]
	v_mov_b32_e32 v1, v7
	global_load_dwordx2 v[7:8], v[0:1], off glc
	s_waitcnt vmcnt(0)
	global_atomic_cmpswap_x2 v[0:1], v3, v[7:10], s[8:9] offset:24 glc
	s_waitcnt vmcnt(0)
	buffer_wbinvl1_vol
	v_cmp_eq_u64_e32 vcc, v[0:1], v[9:10]
	s_or_b64 s[14:15], vcc, s[14:15]
	s_andn2_b64 exec, exec, s[14:15]
	s_cbranch_execnz .LBB1_347
; %bb.348:
	s_or_b64 exec, exec, s[14:15]
.LBB1_349:
	s_or_b64 exec, exec, s[12:13]
.LBB1_350:
	s_or_b64 exec, exec, s[10:11]
	v_mov_b32_e32 v8, 0
	global_load_dwordx2 v[3:4], v8, s[8:9] offset:40
	global_load_dwordx4 v[9:12], v8, s[8:9]
	v_readfirstlane_b32 s11, v1
	v_readfirstlane_b32 s10, v0
	s_mov_b64 s[12:13], exec
	s_waitcnt vmcnt(1)
	v_readfirstlane_b32 s14, v3
	v_readfirstlane_b32 s15, v4
	s_and_b64 s[14:15], s[14:15], s[10:11]
	s_mul_i32 s16, s15, 24
	s_mul_hi_u32 s17, s14, 24
	s_mul_i32 s18, s14, 24
	s_add_i32 s16, s17, s16
	v_mov_b32_e32 v1, s16
	s_waitcnt vmcnt(0)
	v_add_co_u32_e32 v0, vcc, s18, v9
	v_addc_co_u32_e32 v1, vcc, v10, v1, vcc
	s_and_saveexec_b64 s[16:17], s[4:5]
	s_cbranch_execz .LBB1_352
; %bb.351:
	v_mov_b32_e32 v14, s13
	v_mov_b32_e32 v13, s12
	;; [unrolled: 1-line block ×4, first 2 shown]
	global_store_dwordx4 v[0:1], v[13:16], off offset:8
.LBB1_352:
	s_or_b64 exec, exec, s[16:17]
	s_lshl_b64 s[12:13], s[14:15], 12
	v_mov_b32_e32 v3, s13
	v_add_co_u32_e32 v4, vcc, s12, v11
	v_addc_co_u32_e32 v3, vcc, v12, v3, vcc
	s_movk_i32 s12, 0xff1f
	v_and_or_b32 v5, v5, s12, 32
	v_add_co_u32_e32 v11, vcc, v4, v32
	s_mov_b32 s12, 0
	v_mov_b32_e32 v7, 3
	v_readfirstlane_b32 s16, v4
	v_readfirstlane_b32 s17, v3
	v_addc_co_u32_e32 v12, vcc, 0, v3, vcc
	s_mov_b32 s13, s12
	s_mov_b32 s14, s12
	;; [unrolled: 1-line block ×3, first 2 shown]
	s_nop 0
	global_store_dwordx4 v32, v[5:8], s[16:17]
	v_mov_b32_e32 v3, s12
	v_mov_b32_e32 v4, s13
	;; [unrolled: 1-line block ×4, first 2 shown]
	global_store_dwordx4 v32, v[3:6], s[16:17] offset:16
	global_store_dwordx4 v32, v[3:6], s[16:17] offset:32
	;; [unrolled: 1-line block ×3, first 2 shown]
	s_and_saveexec_b64 s[12:13], s[4:5]
	s_cbranch_execz .LBB1_360
; %bb.353:
	v_mov_b32_e32 v13, 0
	global_load_dwordx2 v[16:17], v13, s[8:9] offset:32 glc
	global_load_dwordx2 v[3:4], v13, s[8:9] offset:40
	v_mov_b32_e32 v14, s10
	v_mov_b32_e32 v15, s11
	s_waitcnt vmcnt(0)
	v_readfirstlane_b32 s14, v3
	v_readfirstlane_b32 s15, v4
	s_and_b64 s[14:15], s[14:15], s[10:11]
	s_mul_i32 s15, s15, 24
	s_mul_hi_u32 s16, s14, 24
	s_mul_i32 s14, s14, 24
	s_add_i32 s15, s16, s15
	v_mov_b32_e32 v3, s15
	v_add_co_u32_e32 v7, vcc, s14, v9
	v_addc_co_u32_e32 v8, vcc, v10, v3, vcc
	global_store_dwordx2 v[7:8], v[16:17], off
	s_waitcnt vmcnt(0)
	global_atomic_cmpswap_x2 v[5:6], v13, v[14:17], s[8:9] offset:32 glc
	s_waitcnt vmcnt(0)
	v_cmp_ne_u64_e32 vcc, v[5:6], v[16:17]
	s_and_saveexec_b64 s[14:15], vcc
	s_cbranch_execz .LBB1_356
; %bb.354:
	s_mov_b64 s[16:17], 0
.LBB1_355:                              ; =>This Inner Loop Header: Depth=1
	s_sleep 1
	global_store_dwordx2 v[7:8], v[5:6], off
	v_mov_b32_e32 v3, s10
	v_mov_b32_e32 v4, s11
	s_waitcnt vmcnt(0)
	global_atomic_cmpswap_x2 v[3:4], v13, v[3:6], s[8:9] offset:32 glc
	s_waitcnt vmcnt(0)
	v_cmp_eq_u64_e32 vcc, v[3:4], v[5:6]
	v_mov_b32_e32 v6, v4
	s_or_b64 s[16:17], vcc, s[16:17]
	v_mov_b32_e32 v5, v3
	s_andn2_b64 exec, exec, s[16:17]
	s_cbranch_execnz .LBB1_355
.LBB1_356:
	s_or_b64 exec, exec, s[14:15]
	v_mov_b32_e32 v6, 0
	global_load_dwordx2 v[3:4], v6, s[8:9] offset:16
	s_mov_b64 s[14:15], exec
	v_mbcnt_lo_u32_b32 v5, s14, 0
	v_mbcnt_hi_u32_b32 v5, s15, v5
	v_cmp_eq_u32_e32 vcc, 0, v5
	s_and_saveexec_b64 s[16:17], vcc
	s_cbranch_execz .LBB1_358
; %bb.357:
	s_bcnt1_i32_b64 s14, s[14:15]
	v_mov_b32_e32 v5, s14
	s_waitcnt vmcnt(0)
	global_atomic_add_x2 v[3:4], v[5:6], off offset:8
.LBB1_358:
	s_or_b64 exec, exec, s[16:17]
	s_waitcnt vmcnt(0)
	global_load_dwordx2 v[5:6], v[3:4], off offset:16
	s_waitcnt vmcnt(0)
	v_cmp_eq_u64_e32 vcc, 0, v[5:6]
	s_cbranch_vccnz .LBB1_360
; %bb.359:
	global_load_dword v3, v[3:4], off offset:24
	v_mov_b32_e32 v4, 0
	s_waitcnt vmcnt(0)
	v_readfirstlane_b32 s14, v3
	s_and_b32 m0, s14, 0xffffff
	global_store_dwordx2 v[5:6], v[3:4], off
	s_sendmsg sendmsg(MSG_INTERRUPT)
.LBB1_360:
	s_or_b64 exec, exec, s[12:13]
	s_branch .LBB1_364
.LBB1_361:                              ;   in Loop: Header=BB1_364 Depth=1
	s_or_b64 exec, exec, s[12:13]
	v_readfirstlane_b32 s12, v3
	s_cmp_eq_u32 s12, 0
	s_cbranch_scc1 .LBB1_363
; %bb.362:                              ;   in Loop: Header=BB1_364 Depth=1
	s_sleep 1
	s_cbranch_execnz .LBB1_364
	s_branch .LBB1_366
.LBB1_363:
	s_branch .LBB1_366
.LBB1_364:                              ; =>This Inner Loop Header: Depth=1
	v_mov_b32_e32 v3, 1
	s_and_saveexec_b64 s[12:13], s[4:5]
	s_cbranch_execz .LBB1_361
; %bb.365:                              ;   in Loop: Header=BB1_364 Depth=1
	global_load_dword v3, v[0:1], off offset:20 glc
	s_waitcnt vmcnt(0)
	buffer_wbinvl1_vol
	v_and_b32_e32 v3, 1, v3
	s_branch .LBB1_361
.LBB1_366:
	global_load_dwordx2 v[0:1], v[11:12], off
	s_and_saveexec_b64 s[12:13], s[4:5]
	s_cbranch_execz .LBB1_369
; %bb.367:
	v_mov_b32_e32 v9, 0
	global_load_dwordx2 v[3:4], v9, s[8:9] offset:40
	global_load_dwordx2 v[12:13], v9, s[8:9] offset:24 glc
	global_load_dwordx2 v[5:6], v9, s[8:9]
	s_waitcnt vmcnt(2)
	v_readfirstlane_b32 s14, v3
	v_readfirstlane_b32 s15, v4
	s_add_u32 s16, s14, 1
	s_addc_u32 s17, s15, 0
	s_add_u32 s4, s16, s10
	s_addc_u32 s5, s17, s11
	s_cmp_eq_u64 s[4:5], 0
	s_cselect_b32 s5, s17, s5
	s_cselect_b32 s4, s16, s4
	s_and_b64 s[10:11], s[4:5], s[14:15]
	s_mul_i32 s11, s11, 24
	s_mul_hi_u32 s14, s10, 24
	s_mul_i32 s10, s10, 24
	s_add_i32 s11, s14, s11
	v_mov_b32_e32 v3, s11
	s_waitcnt vmcnt(0)
	v_add_co_u32_e32 v7, vcc, s10, v5
	v_addc_co_u32_e32 v8, vcc, v6, v3, vcc
	v_mov_b32_e32 v10, s4
	global_store_dwordx2 v[7:8], v[12:13], off
	v_mov_b32_e32 v11, s5
	s_waitcnt vmcnt(0)
	global_atomic_cmpswap_x2 v[5:6], v9, v[10:13], s[8:9] offset:24 glc
	s_mov_b64 s[10:11], 0
	s_waitcnt vmcnt(0)
	v_cmp_ne_u64_e32 vcc, v[5:6], v[12:13]
	s_and_b64 exec, exec, vcc
	s_cbranch_execz .LBB1_369
.LBB1_368:                              ; =>This Inner Loop Header: Depth=1
	s_sleep 1
	global_store_dwordx2 v[7:8], v[5:6], off
	v_mov_b32_e32 v3, s4
	v_mov_b32_e32 v4, s5
	s_waitcnt vmcnt(0)
	global_atomic_cmpswap_x2 v[3:4], v9, v[3:6], s[8:9] offset:24 glc
	s_waitcnt vmcnt(0)
	v_cmp_eq_u64_e32 vcc, v[3:4], v[5:6]
	v_mov_b32_e32 v6, v4
	s_or_b64 s[10:11], vcc, s[10:11]
	v_mov_b32_e32 v5, v3
	s_andn2_b64 exec, exec, s[10:11]
	s_cbranch_execnz .LBB1_368
.LBB1_369:
	s_or_b64 exec, exec, s[12:13]
	v_readfirstlane_b32 s4, v33
	v_mov_b32_e32 v8, 0
	v_mov_b32_e32 v9, 0
	v_cmp_eq_u32_e64 s[4:5], s4, v33
	s_and_saveexec_b64 s[10:11], s[4:5]
	s_cbranch_execz .LBB1_375
; %bb.370:
	v_mov_b32_e32 v3, 0
	global_load_dwordx2 v[6:7], v3, s[8:9] offset:24 glc
	s_waitcnt vmcnt(0)
	buffer_wbinvl1_vol
	global_load_dwordx2 v[4:5], v3, s[8:9] offset:40
	global_load_dwordx2 v[8:9], v3, s[8:9]
	s_waitcnt vmcnt(1)
	v_and_b32_e32 v4, v4, v6
	v_and_b32_e32 v5, v5, v7
	v_mul_lo_u32 v5, v5, 24
	v_mul_hi_u32 v10, v4, 24
	v_mul_lo_u32 v4, v4, 24
	v_add_u32_e32 v5, v10, v5
	s_waitcnt vmcnt(0)
	v_add_co_u32_e32 v4, vcc, v8, v4
	v_addc_co_u32_e32 v5, vcc, v9, v5, vcc
	global_load_dwordx2 v[4:5], v[4:5], off glc
	s_waitcnt vmcnt(0)
	global_atomic_cmpswap_x2 v[8:9], v3, v[4:7], s[8:9] offset:24 glc
	s_waitcnt vmcnt(0)
	buffer_wbinvl1_vol
	v_cmp_ne_u64_e32 vcc, v[8:9], v[6:7]
	s_and_saveexec_b64 s[12:13], vcc
	s_cbranch_execz .LBB1_374
; %bb.371:
	s_mov_b64 s[14:15], 0
.LBB1_372:                              ; =>This Inner Loop Header: Depth=1
	s_sleep 1
	global_load_dwordx2 v[4:5], v3, s[8:9] offset:40
	global_load_dwordx2 v[10:11], v3, s[8:9]
	v_mov_b32_e32 v6, v8
	v_mov_b32_e32 v7, v9
	s_waitcnt vmcnt(1)
	v_and_b32_e32 v4, v4, v6
	s_waitcnt vmcnt(0)
	v_mad_u64_u32 v[8:9], s[16:17], v4, 24, v[10:11]
	v_and_b32_e32 v5, v5, v7
	v_mov_b32_e32 v4, v9
	v_mad_u64_u32 v[4:5], s[16:17], v5, 24, v[4:5]
	v_mov_b32_e32 v9, v4
	global_load_dwordx2 v[4:5], v[8:9], off glc
	s_waitcnt vmcnt(0)
	global_atomic_cmpswap_x2 v[8:9], v3, v[4:7], s[8:9] offset:24 glc
	s_waitcnt vmcnt(0)
	buffer_wbinvl1_vol
	v_cmp_eq_u64_e32 vcc, v[8:9], v[6:7]
	s_or_b64 s[14:15], vcc, s[14:15]
	s_andn2_b64 exec, exec, s[14:15]
	s_cbranch_execnz .LBB1_372
; %bb.373:
	s_or_b64 exec, exec, s[14:15]
.LBB1_374:
	s_or_b64 exec, exec, s[12:13]
.LBB1_375:
	s_or_b64 exec, exec, s[10:11]
	v_mov_b32_e32 v3, 0
	global_load_dwordx2 v[10:11], v3, s[8:9] offset:40
	global_load_dwordx4 v[4:7], v3, s[8:9]
	v_readfirstlane_b32 s11, v9
	v_readfirstlane_b32 s10, v8
	s_mov_b64 s[12:13], exec
	s_waitcnt vmcnt(1)
	v_readfirstlane_b32 s14, v10
	v_readfirstlane_b32 s15, v11
	s_and_b64 s[14:15], s[14:15], s[10:11]
	s_mul_i32 s16, s15, 24
	s_mul_hi_u32 s17, s14, 24
	s_mul_i32 s18, s14, 24
	s_add_i32 s16, s17, s16
	v_mov_b32_e32 v9, s16
	s_waitcnt vmcnt(0)
	v_add_co_u32_e32 v8, vcc, s18, v4
	v_addc_co_u32_e32 v9, vcc, v5, v9, vcc
	s_and_saveexec_b64 s[16:17], s[4:5]
	s_cbranch_execz .LBB1_377
; %bb.376:
	v_mov_b32_e32 v10, s12
	v_mov_b32_e32 v11, s13
	;; [unrolled: 1-line block ×4, first 2 shown]
	global_store_dwordx4 v[8:9], v[10:13], off offset:8
.LBB1_377:
	s_or_b64 exec, exec, s[16:17]
	s_lshl_b64 s[12:13], s[14:15], 12
	v_add_co_u32_e32 v6, vcc, s12, v6
	s_movk_i32 s12, 0xff1d
	v_mov_b32_e32 v10, s13
	v_and_or_b32 v0, v0, s12, 34
	s_mov_b32 s12, 0
	v_addc_co_u32_e32 v7, vcc, v7, v10, vcc
	s_mov_b32 s13, s12
	s_mov_b32 s14, s12
	;; [unrolled: 1-line block ×3, first 2 shown]
	v_mov_b32_e32 v10, s12
	v_readfirstlane_b32 s16, v6
	v_readfirstlane_b32 s17, v7
	v_mov_b32_e32 v11, s13
	v_mov_b32_e32 v12, s14
	;; [unrolled: 1-line block ×3, first 2 shown]
	s_nop 1
	global_store_dwordx4 v32, v[0:3], s[16:17]
	global_store_dwordx4 v32, v[10:13], s[16:17] offset:16
	global_store_dwordx4 v32, v[10:13], s[16:17] offset:32
	;; [unrolled: 1-line block ×3, first 2 shown]
	s_and_saveexec_b64 s[12:13], s[4:5]
	s_cbranch_execz .LBB1_385
; %bb.378:
	v_mov_b32_e32 v7, 0
	global_load_dwordx2 v[12:13], v7, s[8:9] offset:32 glc
	global_load_dwordx2 v[0:1], v7, s[8:9] offset:40
	v_mov_b32_e32 v10, s10
	v_mov_b32_e32 v11, s11
	s_waitcnt vmcnt(0)
	v_readfirstlane_b32 s14, v0
	v_readfirstlane_b32 s15, v1
	s_and_b64 s[14:15], s[14:15], s[10:11]
	s_mul_i32 s15, s15, 24
	s_mul_hi_u32 s16, s14, 24
	s_mul_i32 s14, s14, 24
	s_add_i32 s15, s16, s15
	v_mov_b32_e32 v1, s15
	v_add_co_u32_e32 v0, vcc, s14, v4
	v_addc_co_u32_e32 v1, vcc, v5, v1, vcc
	global_store_dwordx2 v[0:1], v[12:13], off
	s_waitcnt vmcnt(0)
	global_atomic_cmpswap_x2 v[5:6], v7, v[10:13], s[8:9] offset:32 glc
	s_waitcnt vmcnt(0)
	v_cmp_ne_u64_e32 vcc, v[5:6], v[12:13]
	s_and_saveexec_b64 s[14:15], vcc
	s_cbranch_execz .LBB1_381
; %bb.379:
	s_mov_b64 s[16:17], 0
.LBB1_380:                              ; =>This Inner Loop Header: Depth=1
	s_sleep 1
	global_store_dwordx2 v[0:1], v[5:6], off
	v_mov_b32_e32 v3, s10
	v_mov_b32_e32 v4, s11
	s_waitcnt vmcnt(0)
	global_atomic_cmpswap_x2 v[3:4], v7, v[3:6], s[8:9] offset:32 glc
	s_waitcnt vmcnt(0)
	v_cmp_eq_u64_e32 vcc, v[3:4], v[5:6]
	v_mov_b32_e32 v6, v4
	s_or_b64 s[16:17], vcc, s[16:17]
	v_mov_b32_e32 v5, v3
	s_andn2_b64 exec, exec, s[16:17]
	s_cbranch_execnz .LBB1_380
.LBB1_381:
	s_or_b64 exec, exec, s[14:15]
	v_mov_b32_e32 v4, 0
	global_load_dwordx2 v[0:1], v4, s[8:9] offset:16
	s_mov_b64 s[14:15], exec
	v_mbcnt_lo_u32_b32 v3, s14, 0
	v_mbcnt_hi_u32_b32 v3, s15, v3
	v_cmp_eq_u32_e32 vcc, 0, v3
	s_and_saveexec_b64 s[16:17], vcc
	s_cbranch_execz .LBB1_383
; %bb.382:
	s_bcnt1_i32_b64 s14, s[14:15]
	v_mov_b32_e32 v3, s14
	s_waitcnt vmcnt(0)
	global_atomic_add_x2 v[0:1], v[3:4], off offset:8
.LBB1_383:
	s_or_b64 exec, exec, s[16:17]
	s_waitcnt vmcnt(0)
	global_load_dwordx2 v[3:4], v[0:1], off offset:16
	s_waitcnt vmcnt(0)
	v_cmp_eq_u64_e32 vcc, 0, v[3:4]
	s_cbranch_vccnz .LBB1_385
; %bb.384:
	global_load_dword v0, v[0:1], off offset:24
	v_mov_b32_e32 v1, 0
	s_waitcnt vmcnt(0)
	v_readfirstlane_b32 s14, v0
	s_and_b32 m0, s14, 0xffffff
	global_store_dwordx2 v[3:4], v[0:1], off
	s_sendmsg sendmsg(MSG_INTERRUPT)
.LBB1_385:
	s_or_b64 exec, exec, s[12:13]
	s_branch .LBB1_389
.LBB1_386:                              ;   in Loop: Header=BB1_389 Depth=1
	s_or_b64 exec, exec, s[12:13]
	v_readfirstlane_b32 s12, v0
	s_cmp_eq_u32 s12, 0
	s_cbranch_scc1 .LBB1_388
; %bb.387:                              ;   in Loop: Header=BB1_389 Depth=1
	s_sleep 1
	s_cbranch_execnz .LBB1_389
	s_branch .LBB1_391
.LBB1_388:
	s_branch .LBB1_391
.LBB1_389:                              ; =>This Inner Loop Header: Depth=1
	v_mov_b32_e32 v0, 1
	s_and_saveexec_b64 s[12:13], s[4:5]
	s_cbranch_execz .LBB1_386
; %bb.390:                              ;   in Loop: Header=BB1_389 Depth=1
	global_load_dword v0, v[8:9], off offset:20 glc
	s_waitcnt vmcnt(0)
	buffer_wbinvl1_vol
	v_and_b32_e32 v0, 1, v0
	s_branch .LBB1_386
.LBB1_391:
	s_and_saveexec_b64 s[12:13], s[4:5]
	s_cbranch_execz .LBB1_394
; %bb.392:
	v_mov_b32_e32 v7, 0
	global_load_dwordx2 v[0:1], v7, s[8:9] offset:40
	global_load_dwordx2 v[10:11], v7, s[8:9] offset:24 glc
	global_load_dwordx2 v[3:4], v7, s[8:9]
	s_waitcnt vmcnt(2)
	v_readfirstlane_b32 s14, v0
	v_readfirstlane_b32 s15, v1
	s_add_u32 s16, s14, 1
	s_addc_u32 s17, s15, 0
	s_add_u32 s4, s16, s10
	s_addc_u32 s5, s17, s11
	s_cmp_eq_u64 s[4:5], 0
	s_cselect_b32 s5, s17, s5
	s_cselect_b32 s4, s16, s4
	s_and_b64 s[10:11], s[4:5], s[14:15]
	s_mul_i32 s11, s11, 24
	s_mul_hi_u32 s14, s10, 24
	s_mul_i32 s10, s10, 24
	s_add_i32 s11, s14, s11
	v_mov_b32_e32 v1, s11
	s_waitcnt vmcnt(0)
	v_add_co_u32_e32 v0, vcc, s10, v3
	v_addc_co_u32_e32 v1, vcc, v4, v1, vcc
	v_mov_b32_e32 v8, s4
	global_store_dwordx2 v[0:1], v[10:11], off
	v_mov_b32_e32 v9, s5
	s_waitcnt vmcnt(0)
	global_atomic_cmpswap_x2 v[5:6], v7, v[8:11], s[8:9] offset:24 glc
	s_mov_b64 s[10:11], 0
	s_waitcnt vmcnt(0)
	v_cmp_ne_u64_e32 vcc, v[5:6], v[10:11]
	s_and_b64 exec, exec, vcc
	s_cbranch_execz .LBB1_394
.LBB1_393:                              ; =>This Inner Loop Header: Depth=1
	s_sleep 1
	global_store_dwordx2 v[0:1], v[5:6], off
	v_mov_b32_e32 v3, s4
	v_mov_b32_e32 v4, s5
	s_waitcnt vmcnt(0)
	global_atomic_cmpswap_x2 v[3:4], v7, v[3:6], s[8:9] offset:24 glc
	s_waitcnt vmcnt(0)
	v_cmp_eq_u64_e32 vcc, v[3:4], v[5:6]
	v_mov_b32_e32 v6, v4
	s_or_b64 s[10:11], vcc, s[10:11]
	v_mov_b32_e32 v5, v3
	s_andn2_b64 exec, exec, s[10:11]
	s_cbranch_execnz .LBB1_393
.LBB1_394:
	s_or_b64 exec, exec, s[12:13]
	v_and_b32_e32 v0, -4, v29
	global_store_dword v0, v2, s[6:7]
.LBB1_395:
	s_endpgm
.LBB1_396:
	s_cbranch_execz .LBB1_199
	s_branch .LBB1_200
	.section	.rodata,"a",@progbits
	.p2align	6, 0x0
	.amdhsa_kernel _ZL32kernel_cg_group_partition_staticILj4EEvPi19TiledGroupShflTests
		.amdhsa_group_segment_fixed_size 0
		.amdhsa_private_segment_fixed_size 12
		.amdhsa_kernarg_size 272
		.amdhsa_user_sgpr_count 8
		.amdhsa_user_sgpr_private_segment_buffer 1
		.amdhsa_user_sgpr_dispatch_ptr 0
		.amdhsa_user_sgpr_queue_ptr 0
		.amdhsa_user_sgpr_kernarg_segment_ptr 1
		.amdhsa_user_sgpr_dispatch_id 0
		.amdhsa_user_sgpr_flat_scratch_init 1
		.amdhsa_user_sgpr_private_segment_size 0
		.amdhsa_uses_dynamic_stack 0
		.amdhsa_system_sgpr_private_segment_wavefront_offset 1
		.amdhsa_system_sgpr_workgroup_id_x 1
		.amdhsa_system_sgpr_workgroup_id_y 0
		.amdhsa_system_sgpr_workgroup_id_z 0
		.amdhsa_system_sgpr_workgroup_info 0
		.amdhsa_system_vgpr_workitem_id 2
		.amdhsa_next_free_vgpr 35
		.amdhsa_next_free_sgpr 32
		.amdhsa_reserve_vcc 1
		.amdhsa_reserve_flat_scratch 1
		.amdhsa_float_round_mode_32 0
		.amdhsa_float_round_mode_16_64 0
		.amdhsa_float_denorm_mode_32 3
		.amdhsa_float_denorm_mode_16_64 3
		.amdhsa_dx10_clamp 1
		.amdhsa_ieee_mode 1
		.amdhsa_fp16_overflow 0
		.amdhsa_exception_fp_ieee_invalid_op 0
		.amdhsa_exception_fp_denorm_src 0
		.amdhsa_exception_fp_ieee_div_zero 0
		.amdhsa_exception_fp_ieee_overflow 0
		.amdhsa_exception_fp_ieee_underflow 0
		.amdhsa_exception_fp_ieee_inexact 0
		.amdhsa_exception_int_div_zero 0
	.end_amdhsa_kernel
	.section	.text._ZL32kernel_cg_group_partition_staticILj4EEvPi19TiledGroupShflTests,"axG",@progbits,_ZL32kernel_cg_group_partition_staticILj4EEvPi19TiledGroupShflTests,comdat
.Lfunc_end1:
	.size	_ZL32kernel_cg_group_partition_staticILj4EEvPi19TiledGroupShflTests, .Lfunc_end1-_ZL32kernel_cg_group_partition_staticILj4EEvPi19TiledGroupShflTests
                                        ; -- End function
	.set _ZL32kernel_cg_group_partition_staticILj4EEvPi19TiledGroupShflTests.num_vgpr, 35
	.set _ZL32kernel_cg_group_partition_staticILj4EEvPi19TiledGroupShflTests.num_agpr, 0
	.set _ZL32kernel_cg_group_partition_staticILj4EEvPi19TiledGroupShflTests.numbered_sgpr, 32
	.set _ZL32kernel_cg_group_partition_staticILj4EEvPi19TiledGroupShflTests.num_named_barrier, 0
	.set _ZL32kernel_cg_group_partition_staticILj4EEvPi19TiledGroupShflTests.private_seg_size, 12
	.set _ZL32kernel_cg_group_partition_staticILj4EEvPi19TiledGroupShflTests.uses_vcc, 1
	.set _ZL32kernel_cg_group_partition_staticILj4EEvPi19TiledGroupShflTests.uses_flat_scratch, 1
	.set _ZL32kernel_cg_group_partition_staticILj4EEvPi19TiledGroupShflTests.has_dyn_sized_stack, 0
	.set _ZL32kernel_cg_group_partition_staticILj4EEvPi19TiledGroupShflTests.has_recursion, 0
	.set _ZL32kernel_cg_group_partition_staticILj4EEvPi19TiledGroupShflTests.has_indirect_call, 0
	.section	.AMDGPU.csdata,"",@progbits
; Kernel info:
; codeLenInByte = 14712
; TotalNumSgprs: 38
; NumVgprs: 35
; ScratchSize: 12
; MemoryBound: 0
; FloatMode: 240
; IeeeMode: 1
; LDSByteSize: 0 bytes/workgroup (compile time only)
; SGPRBlocks: 4
; VGPRBlocks: 8
; NumSGPRsForWavesPerEU: 38
; NumVGPRsForWavesPerEU: 35
; Occupancy: 7
; WaveLimiterHint : 1
; COMPUTE_PGM_RSRC2:SCRATCH_EN: 1
; COMPUTE_PGM_RSRC2:USER_SGPR: 8
; COMPUTE_PGM_RSRC2:TRAP_HANDLER: 0
; COMPUTE_PGM_RSRC2:TGID_X_EN: 1
; COMPUTE_PGM_RSRC2:TGID_Y_EN: 0
; COMPUTE_PGM_RSRC2:TGID_Z_EN: 0
; COMPUTE_PGM_RSRC2:TIDIG_COMP_CNT: 2
	.section	.text._ZL32kernel_cg_group_partition_staticILj8EEvPi19TiledGroupShflTests,"axG",@progbits,_ZL32kernel_cg_group_partition_staticILj8EEvPi19TiledGroupShflTests,comdat
	.globl	_ZL32kernel_cg_group_partition_staticILj8EEvPi19TiledGroupShflTests ; -- Begin function _ZL32kernel_cg_group_partition_staticILj8EEvPi19TiledGroupShflTests
	.p2align	8
	.type	_ZL32kernel_cg_group_partition_staticILj8EEvPi19TiledGroupShflTests,@function
_ZL32kernel_cg_group_partition_staticILj8EEvPi19TiledGroupShflTests: ; @_ZL32kernel_cg_group_partition_staticILj8EEvPi19TiledGroupShflTests
; %bb.0:
	s_add_u32 flat_scratch_lo, s6, s9
	s_load_dword s6, s[4:5], 0x1c
	s_addc_u32 flat_scratch_hi, s7, 0
	s_add_u32 s0, s0, s9
	s_addc_u32 s1, s1, 0
	s_add_u32 s8, s4, 16
	s_addc_u32 s9, s5, 0
	s_waitcnt lgkmcnt(0)
	s_lshr_b32 s28, s6, 16
	s_and_b32 s29, s6, 0xffff
	v_mad_u32_u24 v1, v2, s28, v1
	v_mad_u64_u32 v[29:30], s[6:7], v1, s29, v[0:1]
	v_cmp_eq_u32_e32 vcc, 0, v29
	s_and_saveexec_b64 s[10:11], vcc
	s_cbranch_execz .LBB2_189
; %bb.1:
	s_load_dword s30, s[8:9], 0x10
	s_load_dwordx2 s[12:13], s[8:9], 0x50
	v_mbcnt_lo_u32_b32 v0, -1, 0
	v_mbcnt_hi_u32_b32 v31, -1, v0
	v_readfirstlane_b32 s6, v31
	v_mov_b32_e32 v5, 0
	v_mov_b32_e32 v6, 0
	v_cmp_eq_u32_e64 s[6:7], s6, v31
	s_and_saveexec_b64 s[14:15], s[6:7]
	s_cbranch_execz .LBB2_7
; %bb.2:
	v_mov_b32_e32 v0, 0
	s_waitcnt lgkmcnt(0)
	global_load_dwordx2 v[3:4], v0, s[12:13] offset:24 glc
	s_waitcnt vmcnt(0)
	buffer_wbinvl1_vol
	global_load_dwordx2 v[1:2], v0, s[12:13] offset:40
	global_load_dwordx2 v[5:6], v0, s[12:13]
	s_waitcnt vmcnt(1)
	v_and_b32_e32 v1, v1, v3
	v_and_b32_e32 v2, v2, v4
	v_mul_lo_u32 v2, v2, 24
	v_mul_hi_u32 v7, v1, 24
	v_mul_lo_u32 v1, v1, 24
	v_add_u32_e32 v2, v7, v2
	s_waitcnt vmcnt(0)
	v_add_co_u32_e32 v1, vcc, v5, v1
	v_addc_co_u32_e32 v2, vcc, v6, v2, vcc
	global_load_dwordx2 v[1:2], v[1:2], off glc
	s_waitcnt vmcnt(0)
	global_atomic_cmpswap_x2 v[5:6], v0, v[1:4], s[12:13] offset:24 glc
	s_waitcnt vmcnt(0)
	buffer_wbinvl1_vol
	v_cmp_ne_u64_e32 vcc, v[5:6], v[3:4]
	s_and_saveexec_b64 s[16:17], vcc
	s_cbranch_execz .LBB2_6
; %bb.3:
	s_mov_b64 s[18:19], 0
.LBB2_4:                                ; =>This Inner Loop Header: Depth=1
	s_sleep 1
	global_load_dwordx2 v[1:2], v0, s[12:13] offset:40
	global_load_dwordx2 v[7:8], v0, s[12:13]
	v_mov_b32_e32 v3, v5
	v_mov_b32_e32 v4, v6
	s_waitcnt vmcnt(1)
	v_and_b32_e32 v1, v1, v3
	s_waitcnt vmcnt(0)
	v_mad_u64_u32 v[5:6], s[20:21], v1, 24, v[7:8]
	v_and_b32_e32 v2, v2, v4
	v_mov_b32_e32 v1, v6
	v_mad_u64_u32 v[1:2], s[20:21], v2, 24, v[1:2]
	v_mov_b32_e32 v6, v1
	global_load_dwordx2 v[1:2], v[5:6], off glc
	s_waitcnt vmcnt(0)
	global_atomic_cmpswap_x2 v[5:6], v0, v[1:4], s[12:13] offset:24 glc
	s_waitcnt vmcnt(0)
	buffer_wbinvl1_vol
	v_cmp_eq_u64_e32 vcc, v[5:6], v[3:4]
	s_or_b64 s[18:19], vcc, s[18:19]
	s_andn2_b64 exec, exec, s[18:19]
	s_cbranch_execnz .LBB2_4
; %bb.5:
	s_or_b64 exec, exec, s[18:19]
.LBB2_6:
	s_or_b64 exec, exec, s[16:17]
.LBB2_7:
	s_or_b64 exec, exec, s[14:15]
	v_mov_b32_e32 v4, 0
	s_waitcnt lgkmcnt(0)
	global_load_dwordx2 v[7:8], v4, s[12:13] offset:40
	global_load_dwordx4 v[0:3], v4, s[12:13]
	v_readfirstlane_b32 s15, v6
	v_readfirstlane_b32 s14, v5
	s_mov_b64 s[16:17], exec
	s_waitcnt vmcnt(1)
	v_readfirstlane_b32 s18, v7
	v_readfirstlane_b32 s19, v8
	s_and_b64 s[18:19], s[18:19], s[14:15]
	s_mul_i32 s20, s19, 24
	s_mul_hi_u32 s21, s18, 24
	s_mul_i32 s22, s18, 24
	s_add_i32 s20, s21, s20
	v_mov_b32_e32 v5, s20
	s_waitcnt vmcnt(0)
	v_add_co_u32_e32 v7, vcc, s22, v0
	v_addc_co_u32_e32 v8, vcc, v1, v5, vcc
	s_and_saveexec_b64 s[20:21], s[6:7]
	s_cbranch_execz .LBB2_9
; %bb.8:
	v_mov_b32_e32 v9, s16
	v_mov_b32_e32 v10, s17
	;; [unrolled: 1-line block ×4, first 2 shown]
	global_store_dwordx4 v[7:8], v[9:12], off offset:8
.LBB2_9:
	s_or_b64 exec, exec, s[20:21]
	s_lshl_b64 s[16:17], s[18:19], 12
	v_mov_b32_e32 v5, s17
	v_add_co_u32_e32 v2, vcc, s16, v2
	v_addc_co_u32_e32 v11, vcc, v3, v5, vcc
	v_lshlrev_b32_e32 v30, 6, v31
	s_mov_b32 s16, 0
	v_mov_b32_e32 v3, 33
	v_mov_b32_e32 v5, v4
	;; [unrolled: 1-line block ×3, first 2 shown]
	v_readfirstlane_b32 s20, v2
	v_readfirstlane_b32 s21, v11
	v_add_co_u32_e32 v9, vcc, v2, v30
	s_mov_b32 s17, s16
	s_mov_b32 s18, s16
	;; [unrolled: 1-line block ×3, first 2 shown]
	s_nop 0
	global_store_dwordx4 v30, v[3:6], s[20:21]
	v_mov_b32_e32 v2, s16
	v_addc_co_u32_e32 v10, vcc, 0, v11, vcc
	v_mov_b32_e32 v3, s17
	v_mov_b32_e32 v4, s18
	;; [unrolled: 1-line block ×3, first 2 shown]
	global_store_dwordx4 v30, v[2:5], s[20:21] offset:16
	global_store_dwordx4 v30, v[2:5], s[20:21] offset:32
	global_store_dwordx4 v30, v[2:5], s[20:21] offset:48
	s_and_saveexec_b64 s[16:17], s[6:7]
	s_cbranch_execz .LBB2_17
; %bb.10:
	v_mov_b32_e32 v6, 0
	global_load_dwordx2 v[13:14], v6, s[12:13] offset:32 glc
	global_load_dwordx2 v[2:3], v6, s[12:13] offset:40
	v_mov_b32_e32 v11, s14
	v_mov_b32_e32 v12, s15
	s_waitcnt vmcnt(0)
	v_and_b32_e32 v2, s14, v2
	v_and_b32_e32 v3, s15, v3
	v_mul_lo_u32 v3, v3, 24
	v_mul_hi_u32 v4, v2, 24
	v_mul_lo_u32 v2, v2, 24
	v_add_u32_e32 v3, v4, v3
	v_add_co_u32_e32 v4, vcc, v0, v2
	v_addc_co_u32_e32 v5, vcc, v1, v3, vcc
	global_store_dwordx2 v[4:5], v[13:14], off
	s_waitcnt vmcnt(0)
	global_atomic_cmpswap_x2 v[2:3], v6, v[11:14], s[12:13] offset:32 glc
	s_waitcnt vmcnt(0)
	v_cmp_ne_u64_e32 vcc, v[2:3], v[13:14]
	s_and_saveexec_b64 s[18:19], vcc
	s_cbranch_execz .LBB2_13
; %bb.11:
	s_mov_b64 s[20:21], 0
.LBB2_12:                               ; =>This Inner Loop Header: Depth=1
	s_sleep 1
	global_store_dwordx2 v[4:5], v[2:3], off
	v_mov_b32_e32 v0, s14
	v_mov_b32_e32 v1, s15
	s_waitcnt vmcnt(0)
	global_atomic_cmpswap_x2 v[0:1], v6, v[0:3], s[12:13] offset:32 glc
	s_waitcnt vmcnt(0)
	v_cmp_eq_u64_e32 vcc, v[0:1], v[2:3]
	v_mov_b32_e32 v3, v1
	s_or_b64 s[20:21], vcc, s[20:21]
	v_mov_b32_e32 v2, v0
	s_andn2_b64 exec, exec, s[20:21]
	s_cbranch_execnz .LBB2_12
.LBB2_13:
	s_or_b64 exec, exec, s[18:19]
	v_mov_b32_e32 v3, 0
	global_load_dwordx2 v[0:1], v3, s[12:13] offset:16
	s_mov_b64 s[18:19], exec
	v_mbcnt_lo_u32_b32 v2, s18, 0
	v_mbcnt_hi_u32_b32 v2, s19, v2
	v_cmp_eq_u32_e32 vcc, 0, v2
	s_and_saveexec_b64 s[20:21], vcc
	s_cbranch_execz .LBB2_15
; %bb.14:
	s_bcnt1_i32_b64 s18, s[18:19]
	v_mov_b32_e32 v2, s18
	s_waitcnt vmcnt(0)
	global_atomic_add_x2 v[0:1], v[2:3], off offset:8
.LBB2_15:
	s_or_b64 exec, exec, s[20:21]
	s_waitcnt vmcnt(0)
	global_load_dwordx2 v[2:3], v[0:1], off offset:16
	s_waitcnt vmcnt(0)
	v_cmp_eq_u64_e32 vcc, 0, v[2:3]
	s_cbranch_vccnz .LBB2_17
; %bb.16:
	global_load_dword v0, v[0:1], off offset:24
	v_mov_b32_e32 v1, 0
	s_waitcnt vmcnt(0)
	v_readfirstlane_b32 s18, v0
	s_and_b32 m0, s18, 0xffffff
	global_store_dwordx2 v[2:3], v[0:1], off
	s_sendmsg sendmsg(MSG_INTERRUPT)
.LBB2_17:
	s_or_b64 exec, exec, s[16:17]
	s_branch .LBB2_21
.LBB2_18:                               ;   in Loop: Header=BB2_21 Depth=1
	s_or_b64 exec, exec, s[16:17]
	v_readfirstlane_b32 s16, v0
	s_cmp_eq_u32 s16, 0
	s_cbranch_scc1 .LBB2_20
; %bb.19:                               ;   in Loop: Header=BB2_21 Depth=1
	s_sleep 1
	s_cbranch_execnz .LBB2_21
	s_branch .LBB2_23
.LBB2_20:
	s_branch .LBB2_23
.LBB2_21:                               ; =>This Inner Loop Header: Depth=1
	v_mov_b32_e32 v0, 1
	s_and_saveexec_b64 s[16:17], s[6:7]
	s_cbranch_execz .LBB2_18
; %bb.22:                               ;   in Loop: Header=BB2_21 Depth=1
	global_load_dword v0, v[7:8], off offset:20 glc
	s_waitcnt vmcnt(0)
	buffer_wbinvl1_vol
	v_and_b32_e32 v0, 1, v0
	s_branch .LBB2_18
.LBB2_23:
	global_load_dwordx2 v[0:1], v[9:10], off
	s_and_saveexec_b64 s[16:17], s[6:7]
	s_cbranch_execz .LBB2_26
; %bb.24:
	v_mov_b32_e32 v8, 0
	global_load_dwordx2 v[2:3], v8, s[12:13] offset:40
	global_load_dwordx2 v[11:12], v8, s[12:13] offset:24 glc
	global_load_dwordx2 v[4:5], v8, s[12:13]
	s_waitcnt vmcnt(2)
	v_readfirstlane_b32 s18, v2
	v_readfirstlane_b32 s19, v3
	s_add_u32 s20, s18, 1
	s_addc_u32 s21, s19, 0
	s_add_u32 s6, s20, s14
	s_addc_u32 s7, s21, s15
	s_cmp_eq_u64 s[6:7], 0
	s_cselect_b32 s7, s21, s7
	s_cselect_b32 s6, s20, s6
	s_and_b64 s[14:15], s[6:7], s[18:19]
	s_mul_i32 s15, s15, 24
	s_mul_hi_u32 s18, s14, 24
	s_mul_i32 s14, s14, 24
	s_add_i32 s15, s18, s15
	v_mov_b32_e32 v2, s15
	s_waitcnt vmcnt(0)
	v_add_co_u32_e32 v6, vcc, s14, v4
	v_addc_co_u32_e32 v7, vcc, v5, v2, vcc
	v_mov_b32_e32 v9, s6
	global_store_dwordx2 v[6:7], v[11:12], off
	v_mov_b32_e32 v10, s7
	s_waitcnt vmcnt(0)
	global_atomic_cmpswap_x2 v[4:5], v8, v[9:12], s[12:13] offset:24 glc
	s_mov_b64 s[14:15], 0
	s_waitcnt vmcnt(0)
	v_cmp_ne_u64_e32 vcc, v[4:5], v[11:12]
	s_and_b64 exec, exec, vcc
	s_cbranch_execz .LBB2_26
.LBB2_25:                               ; =>This Inner Loop Header: Depth=1
	s_sleep 1
	global_store_dwordx2 v[6:7], v[4:5], off
	v_mov_b32_e32 v2, s6
	v_mov_b32_e32 v3, s7
	s_waitcnt vmcnt(0)
	global_atomic_cmpswap_x2 v[2:3], v8, v[2:5], s[12:13] offset:24 glc
	s_waitcnt vmcnt(0)
	v_cmp_eq_u64_e32 vcc, v[2:3], v[4:5]
	v_mov_b32_e32 v5, v3
	s_or_b64 s[14:15], vcc, s[14:15]
	v_mov_b32_e32 v4, v2
	s_andn2_b64 exec, exec, s[14:15]
	s_cbranch_execnz .LBB2_25
.LBB2_26:
	s_or_b64 exec, exec, s[16:17]
	s_getpc_b64 s[14:15]
	s_add_u32 s14, s14, .str@rel32@lo+4
	s_addc_u32 s15, s15, .str@rel32@hi+12
	s_cmp_lg_u64 s[14:15], 0
	s_cbranch_scc0 .LBB2_112
; %bb.27:
	s_waitcnt vmcnt(0)
	v_and_b32_e32 v32, 2, v0
	v_mov_b32_e32 v26, 0
	v_and_b32_e32 v2, -3, v0
	v_mov_b32_e32 v3, v1
	s_mov_b64 s[16:17], 48
	v_mov_b32_e32 v8, 2
	v_mov_b32_e32 v9, 1
	s_branch .LBB2_29
.LBB2_28:                               ;   in Loop: Header=BB2_29 Depth=1
	s_or_b64 exec, exec, s[22:23]
	s_sub_u32 s16, s16, s18
	s_subb_u32 s17, s17, s19
	s_add_u32 s14, s14, s18
	s_addc_u32 s15, s15, s19
	s_cmp_lg_u64 s[16:17], 0
	s_cbranch_scc0 .LBB2_111
.LBB2_29:                               ; =>This Loop Header: Depth=1
                                        ;     Child Loop BB2_32 Depth 2
                                        ;     Child Loop BB2_40 Depth 2
	;; [unrolled: 1-line block ×11, first 2 shown]
	v_cmp_lt_u64_e64 s[6:7], s[16:17], 56
	v_cmp_gt_u64_e64 s[20:21], s[16:17], 7
	s_and_b64 s[6:7], s[6:7], exec
	s_cselect_b32 s19, s17, 0
	s_cselect_b32 s18, s16, 56
	s_add_u32 s6, s14, 8
	s_addc_u32 s7, s15, 0
	s_and_b64 vcc, exec, s[20:21]
	s_cbranch_vccnz .LBB2_33
; %bb.30:                               ;   in Loop: Header=BB2_29 Depth=1
	s_cmp_eq_u64 s[16:17], 0
	s_cbranch_scc1 .LBB2_34
; %bb.31:                               ;   in Loop: Header=BB2_29 Depth=1
	v_mov_b32_e32 v4, 0
	s_lshl_b64 s[6:7], s[18:19], 3
	s_mov_b64 s[20:21], 0
	v_mov_b32_e32 v5, 0
	s_mov_b64 s[22:23], s[14:15]
.LBB2_32:                               ;   Parent Loop BB2_29 Depth=1
                                        ; =>  This Inner Loop Header: Depth=2
	global_load_ubyte v6, v26, s[22:23]
	s_waitcnt vmcnt(0)
	v_and_b32_e32 v25, 0xffff, v6
	v_lshlrev_b64 v[6:7], s20, v[25:26]
	s_add_u32 s20, s20, 8
	s_addc_u32 s21, s21, 0
	s_add_u32 s22, s22, 1
	s_addc_u32 s23, s23, 0
	v_or_b32_e32 v4, v6, v4
	s_cmp_lg_u32 s6, s20
	v_or_b32_e32 v5, v7, v5
	s_cbranch_scc1 .LBB2_32
	s_branch .LBB2_35
.LBB2_33:                               ;   in Loop: Header=BB2_29 Depth=1
	s_mov_b32 s24, 0
	s_branch .LBB2_36
.LBB2_34:                               ;   in Loop: Header=BB2_29 Depth=1
	v_mov_b32_e32 v4, 0
	v_mov_b32_e32 v5, 0
.LBB2_35:                               ;   in Loop: Header=BB2_29 Depth=1
	s_mov_b64 s[6:7], s[14:15]
	s_mov_b32 s24, 0
	s_cbranch_execnz .LBB2_37
.LBB2_36:                               ;   in Loop: Header=BB2_29 Depth=1
	global_load_dwordx2 v[4:5], v26, s[14:15]
	s_add_i32 s24, s18, -8
.LBB2_37:                               ;   in Loop: Header=BB2_29 Depth=1
	s_add_u32 s20, s6, 8
	s_addc_u32 s21, s7, 0
	s_cmp_gt_u32 s24, 7
	s_cbranch_scc1 .LBB2_41
; %bb.38:                               ;   in Loop: Header=BB2_29 Depth=1
	s_cmp_eq_u32 s24, 0
	s_cbranch_scc1 .LBB2_42
; %bb.39:                               ;   in Loop: Header=BB2_29 Depth=1
	v_mov_b32_e32 v10, 0
	s_mov_b64 s[20:21], 0
	v_mov_b32_e32 v11, 0
	s_mov_b64 s[22:23], 0
.LBB2_40:                               ;   Parent Loop BB2_29 Depth=1
                                        ; =>  This Inner Loop Header: Depth=2
	s_add_u32 s26, s6, s22
	s_addc_u32 s27, s7, s23
	global_load_ubyte v6, v26, s[26:27]
	s_add_u32 s22, s22, 1
	s_addc_u32 s23, s23, 0
	s_waitcnt vmcnt(0)
	v_and_b32_e32 v25, 0xffff, v6
	v_lshlrev_b64 v[6:7], s20, v[25:26]
	s_add_u32 s20, s20, 8
	s_addc_u32 s21, s21, 0
	v_or_b32_e32 v10, v6, v10
	s_cmp_lg_u32 s24, s22
	v_or_b32_e32 v11, v7, v11
	s_cbranch_scc1 .LBB2_40
	s_branch .LBB2_43
.LBB2_41:                               ;   in Loop: Header=BB2_29 Depth=1
                                        ; implicit-def: $vgpr10_vgpr11
	s_mov_b32 s25, 0
	s_branch .LBB2_44
.LBB2_42:                               ;   in Loop: Header=BB2_29 Depth=1
	v_mov_b32_e32 v10, 0
	v_mov_b32_e32 v11, 0
.LBB2_43:                               ;   in Loop: Header=BB2_29 Depth=1
	s_mov_b64 s[20:21], s[6:7]
	s_mov_b32 s25, 0
	s_cbranch_execnz .LBB2_45
.LBB2_44:                               ;   in Loop: Header=BB2_29 Depth=1
	global_load_dwordx2 v[10:11], v26, s[6:7]
	s_add_i32 s25, s24, -8
.LBB2_45:                               ;   in Loop: Header=BB2_29 Depth=1
	s_add_u32 s6, s20, 8
	s_addc_u32 s7, s21, 0
	s_cmp_gt_u32 s25, 7
	s_cbranch_scc1 .LBB2_49
; %bb.46:                               ;   in Loop: Header=BB2_29 Depth=1
	s_cmp_eq_u32 s25, 0
	s_cbranch_scc1 .LBB2_50
; %bb.47:                               ;   in Loop: Header=BB2_29 Depth=1
	v_mov_b32_e32 v12, 0
	s_mov_b64 s[6:7], 0
	v_mov_b32_e32 v13, 0
	s_mov_b64 s[22:23], 0
.LBB2_48:                               ;   Parent Loop BB2_29 Depth=1
                                        ; =>  This Inner Loop Header: Depth=2
	s_add_u32 s26, s20, s22
	s_addc_u32 s27, s21, s23
	global_load_ubyte v6, v26, s[26:27]
	s_add_u32 s22, s22, 1
	s_addc_u32 s23, s23, 0
	s_waitcnt vmcnt(0)
	v_and_b32_e32 v25, 0xffff, v6
	v_lshlrev_b64 v[6:7], s6, v[25:26]
	s_add_u32 s6, s6, 8
	s_addc_u32 s7, s7, 0
	v_or_b32_e32 v12, v6, v12
	s_cmp_lg_u32 s25, s22
	v_or_b32_e32 v13, v7, v13
	s_cbranch_scc1 .LBB2_48
	s_branch .LBB2_51
.LBB2_49:                               ;   in Loop: Header=BB2_29 Depth=1
	s_mov_b32 s24, 0
	s_branch .LBB2_52
.LBB2_50:                               ;   in Loop: Header=BB2_29 Depth=1
	v_mov_b32_e32 v12, 0
	v_mov_b32_e32 v13, 0
.LBB2_51:                               ;   in Loop: Header=BB2_29 Depth=1
	s_mov_b64 s[6:7], s[20:21]
	s_mov_b32 s24, 0
	s_cbranch_execnz .LBB2_53
.LBB2_52:                               ;   in Loop: Header=BB2_29 Depth=1
	global_load_dwordx2 v[12:13], v26, s[20:21]
	s_add_i32 s24, s25, -8
.LBB2_53:                               ;   in Loop: Header=BB2_29 Depth=1
	s_add_u32 s20, s6, 8
	s_addc_u32 s21, s7, 0
	s_cmp_gt_u32 s24, 7
	s_cbranch_scc1 .LBB2_57
; %bb.54:                               ;   in Loop: Header=BB2_29 Depth=1
	s_cmp_eq_u32 s24, 0
	s_cbranch_scc1 .LBB2_58
; %bb.55:                               ;   in Loop: Header=BB2_29 Depth=1
	v_mov_b32_e32 v14, 0
	s_mov_b64 s[20:21], 0
	v_mov_b32_e32 v15, 0
	s_mov_b64 s[22:23], 0
.LBB2_56:                               ;   Parent Loop BB2_29 Depth=1
                                        ; =>  This Inner Loop Header: Depth=2
	s_add_u32 s26, s6, s22
	s_addc_u32 s27, s7, s23
	global_load_ubyte v6, v26, s[26:27]
	s_add_u32 s22, s22, 1
	s_addc_u32 s23, s23, 0
	s_waitcnt vmcnt(0)
	v_and_b32_e32 v25, 0xffff, v6
	v_lshlrev_b64 v[6:7], s20, v[25:26]
	s_add_u32 s20, s20, 8
	s_addc_u32 s21, s21, 0
	v_or_b32_e32 v14, v6, v14
	s_cmp_lg_u32 s24, s22
	v_or_b32_e32 v15, v7, v15
	s_cbranch_scc1 .LBB2_56
	s_branch .LBB2_59
.LBB2_57:                               ;   in Loop: Header=BB2_29 Depth=1
                                        ; implicit-def: $vgpr14_vgpr15
	s_mov_b32 s25, 0
	s_branch .LBB2_60
.LBB2_58:                               ;   in Loop: Header=BB2_29 Depth=1
	v_mov_b32_e32 v14, 0
	v_mov_b32_e32 v15, 0
.LBB2_59:                               ;   in Loop: Header=BB2_29 Depth=1
	s_mov_b64 s[20:21], s[6:7]
	s_mov_b32 s25, 0
	s_cbranch_execnz .LBB2_61
.LBB2_60:                               ;   in Loop: Header=BB2_29 Depth=1
	global_load_dwordx2 v[14:15], v26, s[6:7]
	s_add_i32 s25, s24, -8
.LBB2_61:                               ;   in Loop: Header=BB2_29 Depth=1
	s_add_u32 s6, s20, 8
	s_addc_u32 s7, s21, 0
	s_cmp_gt_u32 s25, 7
	s_cbranch_scc1 .LBB2_65
; %bb.62:                               ;   in Loop: Header=BB2_29 Depth=1
	s_cmp_eq_u32 s25, 0
	s_cbranch_scc1 .LBB2_66
; %bb.63:                               ;   in Loop: Header=BB2_29 Depth=1
	v_mov_b32_e32 v16, 0
	s_mov_b64 s[6:7], 0
	v_mov_b32_e32 v17, 0
	s_mov_b64 s[22:23], 0
.LBB2_64:                               ;   Parent Loop BB2_29 Depth=1
                                        ; =>  This Inner Loop Header: Depth=2
	s_add_u32 s26, s20, s22
	s_addc_u32 s27, s21, s23
	global_load_ubyte v6, v26, s[26:27]
	s_add_u32 s22, s22, 1
	s_addc_u32 s23, s23, 0
	s_waitcnt vmcnt(0)
	v_and_b32_e32 v25, 0xffff, v6
	v_lshlrev_b64 v[6:7], s6, v[25:26]
	s_add_u32 s6, s6, 8
	s_addc_u32 s7, s7, 0
	v_or_b32_e32 v16, v6, v16
	s_cmp_lg_u32 s25, s22
	v_or_b32_e32 v17, v7, v17
	s_cbranch_scc1 .LBB2_64
	s_branch .LBB2_67
.LBB2_65:                               ;   in Loop: Header=BB2_29 Depth=1
	s_mov_b32 s24, 0
	s_branch .LBB2_68
.LBB2_66:                               ;   in Loop: Header=BB2_29 Depth=1
	v_mov_b32_e32 v16, 0
	v_mov_b32_e32 v17, 0
.LBB2_67:                               ;   in Loop: Header=BB2_29 Depth=1
	s_mov_b64 s[6:7], s[20:21]
	s_mov_b32 s24, 0
	s_cbranch_execnz .LBB2_69
.LBB2_68:                               ;   in Loop: Header=BB2_29 Depth=1
	global_load_dwordx2 v[16:17], v26, s[20:21]
	s_add_i32 s24, s25, -8
.LBB2_69:                               ;   in Loop: Header=BB2_29 Depth=1
	s_add_u32 s20, s6, 8
	s_addc_u32 s21, s7, 0
	s_cmp_gt_u32 s24, 7
	s_cbranch_scc1 .LBB2_73
; %bb.70:                               ;   in Loop: Header=BB2_29 Depth=1
	s_cmp_eq_u32 s24, 0
	s_cbranch_scc1 .LBB2_74
; %bb.71:                               ;   in Loop: Header=BB2_29 Depth=1
	v_mov_b32_e32 v18, 0
	s_mov_b64 s[20:21], 0
	v_mov_b32_e32 v19, 0
	s_mov_b64 s[22:23], 0
.LBB2_72:                               ;   Parent Loop BB2_29 Depth=1
                                        ; =>  This Inner Loop Header: Depth=2
	s_add_u32 s26, s6, s22
	s_addc_u32 s27, s7, s23
	global_load_ubyte v6, v26, s[26:27]
	s_add_u32 s22, s22, 1
	s_addc_u32 s23, s23, 0
	s_waitcnt vmcnt(0)
	v_and_b32_e32 v25, 0xffff, v6
	v_lshlrev_b64 v[6:7], s20, v[25:26]
	s_add_u32 s20, s20, 8
	s_addc_u32 s21, s21, 0
	v_or_b32_e32 v18, v6, v18
	s_cmp_lg_u32 s24, s22
	v_or_b32_e32 v19, v7, v19
	s_cbranch_scc1 .LBB2_72
	s_branch .LBB2_75
.LBB2_73:                               ;   in Loop: Header=BB2_29 Depth=1
                                        ; implicit-def: $vgpr18_vgpr19
	s_mov_b32 s25, 0
	s_branch .LBB2_76
.LBB2_74:                               ;   in Loop: Header=BB2_29 Depth=1
	v_mov_b32_e32 v18, 0
	v_mov_b32_e32 v19, 0
.LBB2_75:                               ;   in Loop: Header=BB2_29 Depth=1
	s_mov_b64 s[20:21], s[6:7]
	s_mov_b32 s25, 0
	s_cbranch_execnz .LBB2_77
.LBB2_76:                               ;   in Loop: Header=BB2_29 Depth=1
	global_load_dwordx2 v[18:19], v26, s[6:7]
	s_add_i32 s25, s24, -8
.LBB2_77:                               ;   in Loop: Header=BB2_29 Depth=1
	s_cmp_gt_u32 s25, 7
	s_cbranch_scc1 .LBB2_81
; %bb.78:                               ;   in Loop: Header=BB2_29 Depth=1
	s_cmp_eq_u32 s25, 0
	s_cbranch_scc1 .LBB2_82
; %bb.79:                               ;   in Loop: Header=BB2_29 Depth=1
	v_mov_b32_e32 v20, 0
	s_mov_b64 s[6:7], 0
	v_mov_b32_e32 v21, 0
	s_mov_b64 s[22:23], s[20:21]
.LBB2_80:                               ;   Parent Loop BB2_29 Depth=1
                                        ; =>  This Inner Loop Header: Depth=2
	global_load_ubyte v6, v26, s[22:23]
	s_add_i32 s25, s25, -1
	s_waitcnt vmcnt(0)
	v_and_b32_e32 v25, 0xffff, v6
	v_lshlrev_b64 v[6:7], s6, v[25:26]
	s_add_u32 s6, s6, 8
	s_addc_u32 s7, s7, 0
	s_add_u32 s22, s22, 1
	s_addc_u32 s23, s23, 0
	v_or_b32_e32 v20, v6, v20
	s_cmp_lg_u32 s25, 0
	v_or_b32_e32 v21, v7, v21
	s_cbranch_scc1 .LBB2_80
	s_branch .LBB2_83
.LBB2_81:                               ;   in Loop: Header=BB2_29 Depth=1
	s_branch .LBB2_84
.LBB2_82:                               ;   in Loop: Header=BB2_29 Depth=1
	v_mov_b32_e32 v20, 0
	v_mov_b32_e32 v21, 0
.LBB2_83:                               ;   in Loop: Header=BB2_29 Depth=1
	s_cbranch_execnz .LBB2_85
.LBB2_84:                               ;   in Loop: Header=BB2_29 Depth=1
	global_load_dwordx2 v[20:21], v26, s[20:21]
.LBB2_85:                               ;   in Loop: Header=BB2_29 Depth=1
	v_readfirstlane_b32 s6, v31
	v_mov_b32_e32 v6, 0
	v_mov_b32_e32 v7, 0
	v_cmp_eq_u32_e64 s[6:7], s6, v31
	s_and_saveexec_b64 s[20:21], s[6:7]
	s_cbranch_execz .LBB2_91
; %bb.86:                               ;   in Loop: Header=BB2_29 Depth=1
	global_load_dwordx2 v[24:25], v26, s[12:13] offset:24 glc
	s_waitcnt vmcnt(0)
	buffer_wbinvl1_vol
	global_load_dwordx2 v[6:7], v26, s[12:13] offset:40
	global_load_dwordx2 v[22:23], v26, s[12:13]
	s_waitcnt vmcnt(1)
	v_and_b32_e32 v6, v6, v24
	v_and_b32_e32 v7, v7, v25
	v_mul_lo_u32 v7, v7, 24
	v_mul_hi_u32 v27, v6, 24
	v_mul_lo_u32 v6, v6, 24
	v_add_u32_e32 v7, v27, v7
	s_waitcnt vmcnt(0)
	v_add_co_u32_e32 v6, vcc, v22, v6
	v_addc_co_u32_e32 v7, vcc, v23, v7, vcc
	global_load_dwordx2 v[22:23], v[6:7], off glc
	s_waitcnt vmcnt(0)
	global_atomic_cmpswap_x2 v[6:7], v26, v[22:25], s[12:13] offset:24 glc
	s_waitcnt vmcnt(0)
	buffer_wbinvl1_vol
	v_cmp_ne_u64_e32 vcc, v[6:7], v[24:25]
	s_and_saveexec_b64 s[22:23], vcc
	s_cbranch_execz .LBB2_90
; %bb.87:                               ;   in Loop: Header=BB2_29 Depth=1
	s_mov_b64 s[24:25], 0
.LBB2_88:                               ;   Parent Loop BB2_29 Depth=1
                                        ; =>  This Inner Loop Header: Depth=2
	s_sleep 1
	global_load_dwordx2 v[22:23], v26, s[12:13] offset:40
	global_load_dwordx2 v[27:28], v26, s[12:13]
	v_mov_b32_e32 v25, v7
	v_mov_b32_e32 v24, v6
	s_waitcnt vmcnt(1)
	v_and_b32_e32 v6, v22, v24
	s_waitcnt vmcnt(0)
	v_mad_u64_u32 v[6:7], s[26:27], v6, 24, v[27:28]
	v_and_b32_e32 v22, v23, v25
	v_mad_u64_u32 v[22:23], s[26:27], v22, 24, v[7:8]
	v_mov_b32_e32 v7, v22
	global_load_dwordx2 v[22:23], v[6:7], off glc
	s_waitcnt vmcnt(0)
	global_atomic_cmpswap_x2 v[6:7], v26, v[22:25], s[12:13] offset:24 glc
	s_waitcnt vmcnt(0)
	buffer_wbinvl1_vol
	v_cmp_eq_u64_e32 vcc, v[6:7], v[24:25]
	s_or_b64 s[24:25], vcc, s[24:25]
	s_andn2_b64 exec, exec, s[24:25]
	s_cbranch_execnz .LBB2_88
; %bb.89:                               ;   in Loop: Header=BB2_29 Depth=1
	s_or_b64 exec, exec, s[24:25]
.LBB2_90:                               ;   in Loop: Header=BB2_29 Depth=1
	s_or_b64 exec, exec, s[22:23]
.LBB2_91:                               ;   in Loop: Header=BB2_29 Depth=1
	s_or_b64 exec, exec, s[20:21]
	global_load_dwordx2 v[27:28], v26, s[12:13] offset:40
	global_load_dwordx4 v[22:25], v26, s[12:13]
	v_readfirstlane_b32 s21, v7
	v_readfirstlane_b32 s20, v6
	s_mov_b64 s[22:23], exec
	s_waitcnt vmcnt(1)
	v_readfirstlane_b32 s24, v27
	v_readfirstlane_b32 s25, v28
	s_and_b64 s[24:25], s[24:25], s[20:21]
	s_mul_i32 s26, s25, 24
	s_mul_hi_u32 s27, s24, 24
	s_mul_i32 s31, s24, 24
	s_add_i32 s26, s27, s26
	v_mov_b32_e32 v6, s26
	s_waitcnt vmcnt(0)
	v_add_co_u32_e32 v27, vcc, s31, v22
	v_addc_co_u32_e32 v28, vcc, v23, v6, vcc
	s_and_saveexec_b64 s[26:27], s[6:7]
	s_cbranch_execz .LBB2_93
; %bb.92:                               ;   in Loop: Header=BB2_29 Depth=1
	v_mov_b32_e32 v6, s22
	v_mov_b32_e32 v7, s23
	global_store_dwordx4 v[27:28], v[6:9], off offset:8
.LBB2_93:                               ;   in Loop: Header=BB2_29 Depth=1
	s_or_b64 exec, exec, s[26:27]
	s_lshl_b64 s[22:23], s[24:25], 12
	v_mov_b32_e32 v6, s23
	v_add_co_u32_e32 v24, vcc, s22, v24
	v_addc_co_u32_e32 v33, vcc, v25, v6, vcc
	v_cmp_lt_u64_e64 vcc, s[16:17], 57
	s_lshl_b32 s22, s18, 2
	v_cndmask_b32_e32 v6, 0, v32, vcc
	s_add_i32 s22, s22, 28
	v_and_b32_e32 v2, 0xffffff1f, v2
	s_and_b32 s22, s22, 0x1e0
	v_or_b32_e32 v2, v2, v6
	v_or_b32_e32 v2, s22, v2
	v_readfirstlane_b32 s22, v24
	v_readfirstlane_b32 s23, v33
	s_nop 4
	global_store_dwordx4 v30, v[2:5], s[22:23]
	global_store_dwordx4 v30, v[10:13], s[22:23] offset:16
	global_store_dwordx4 v30, v[14:17], s[22:23] offset:32
	;; [unrolled: 1-line block ×3, first 2 shown]
	s_and_saveexec_b64 s[22:23], s[6:7]
	s_cbranch_execz .LBB2_101
; %bb.94:                               ;   in Loop: Header=BB2_29 Depth=1
	global_load_dwordx2 v[12:13], v26, s[12:13] offset:32 glc
	global_load_dwordx2 v[2:3], v26, s[12:13] offset:40
	v_mov_b32_e32 v10, s20
	v_mov_b32_e32 v11, s21
	s_waitcnt vmcnt(0)
	v_readfirstlane_b32 s24, v2
	v_readfirstlane_b32 s25, v3
	s_and_b64 s[24:25], s[24:25], s[20:21]
	s_mul_i32 s25, s25, 24
	s_mul_hi_u32 s26, s24, 24
	s_mul_i32 s24, s24, 24
	s_add_i32 s25, s26, s25
	v_mov_b32_e32 v2, s25
	v_add_co_u32_e32 v6, vcc, s24, v22
	v_addc_co_u32_e32 v7, vcc, v23, v2, vcc
	global_store_dwordx2 v[6:7], v[12:13], off
	s_waitcnt vmcnt(0)
	global_atomic_cmpswap_x2 v[4:5], v26, v[10:13], s[12:13] offset:32 glc
	s_waitcnt vmcnt(0)
	v_cmp_ne_u64_e32 vcc, v[4:5], v[12:13]
	s_and_saveexec_b64 s[24:25], vcc
	s_cbranch_execz .LBB2_97
; %bb.95:                               ;   in Loop: Header=BB2_29 Depth=1
	s_mov_b64 s[26:27], 0
.LBB2_96:                               ;   Parent Loop BB2_29 Depth=1
                                        ; =>  This Inner Loop Header: Depth=2
	s_sleep 1
	global_store_dwordx2 v[6:7], v[4:5], off
	v_mov_b32_e32 v2, s20
	v_mov_b32_e32 v3, s21
	s_waitcnt vmcnt(0)
	global_atomic_cmpswap_x2 v[2:3], v26, v[2:5], s[12:13] offset:32 glc
	s_waitcnt vmcnt(0)
	v_cmp_eq_u64_e32 vcc, v[2:3], v[4:5]
	v_mov_b32_e32 v5, v3
	s_or_b64 s[26:27], vcc, s[26:27]
	v_mov_b32_e32 v4, v2
	s_andn2_b64 exec, exec, s[26:27]
	s_cbranch_execnz .LBB2_96
.LBB2_97:                               ;   in Loop: Header=BB2_29 Depth=1
	s_or_b64 exec, exec, s[24:25]
	global_load_dwordx2 v[2:3], v26, s[12:13] offset:16
	s_mov_b64 s[26:27], exec
	v_mbcnt_lo_u32_b32 v4, s26, 0
	v_mbcnt_hi_u32_b32 v4, s27, v4
	v_cmp_eq_u32_e32 vcc, 0, v4
	s_and_saveexec_b64 s[24:25], vcc
	s_cbranch_execz .LBB2_99
; %bb.98:                               ;   in Loop: Header=BB2_29 Depth=1
	s_bcnt1_i32_b64 s26, s[26:27]
	v_mov_b32_e32 v25, s26
	s_waitcnt vmcnt(0)
	global_atomic_add_x2 v[2:3], v[25:26], off offset:8
.LBB2_99:                               ;   in Loop: Header=BB2_29 Depth=1
	s_or_b64 exec, exec, s[24:25]
	s_waitcnt vmcnt(0)
	global_load_dwordx2 v[4:5], v[2:3], off offset:16
	s_waitcnt vmcnt(0)
	v_cmp_eq_u64_e32 vcc, 0, v[4:5]
	s_cbranch_vccnz .LBB2_101
; %bb.100:                              ;   in Loop: Header=BB2_29 Depth=1
	global_load_dword v25, v[2:3], off offset:24
	s_waitcnt vmcnt(0)
	v_readfirstlane_b32 s24, v25
	s_and_b32 m0, s24, 0xffffff
	global_store_dwordx2 v[4:5], v[25:26], off
	s_sendmsg sendmsg(MSG_INTERRUPT)
.LBB2_101:                              ;   in Loop: Header=BB2_29 Depth=1
	s_or_b64 exec, exec, s[22:23]
	v_add_co_u32_e32 v2, vcc, v24, v30
	v_addc_co_u32_e32 v3, vcc, 0, v33, vcc
	s_branch .LBB2_105
.LBB2_102:                              ;   in Loop: Header=BB2_105 Depth=2
	s_or_b64 exec, exec, s[22:23]
	v_readfirstlane_b32 s22, v4
	s_cmp_eq_u32 s22, 0
	s_cbranch_scc1 .LBB2_104
; %bb.103:                              ;   in Loop: Header=BB2_105 Depth=2
	s_sleep 1
	s_cbranch_execnz .LBB2_105
	s_branch .LBB2_107
.LBB2_104:                              ;   in Loop: Header=BB2_29 Depth=1
	s_branch .LBB2_107
.LBB2_105:                              ;   Parent Loop BB2_29 Depth=1
                                        ; =>  This Inner Loop Header: Depth=2
	v_mov_b32_e32 v4, 1
	s_and_saveexec_b64 s[22:23], s[6:7]
	s_cbranch_execz .LBB2_102
; %bb.106:                              ;   in Loop: Header=BB2_105 Depth=2
	global_load_dword v4, v[27:28], off offset:20 glc
	s_waitcnt vmcnt(0)
	buffer_wbinvl1_vol
	v_and_b32_e32 v4, 1, v4
	s_branch .LBB2_102
.LBB2_107:                              ;   in Loop: Header=BB2_29 Depth=1
	global_load_dwordx2 v[2:3], v[2:3], off
	s_and_saveexec_b64 s[22:23], s[6:7]
	s_cbranch_execz .LBB2_28
; %bb.108:                              ;   in Loop: Header=BB2_29 Depth=1
	global_load_dwordx2 v[4:5], v26, s[12:13] offset:40
	global_load_dwordx2 v[14:15], v26, s[12:13] offset:24 glc
	global_load_dwordx2 v[6:7], v26, s[12:13]
	s_waitcnt vmcnt(2)
	v_readfirstlane_b32 s24, v4
	v_readfirstlane_b32 s25, v5
	s_add_u32 s26, s24, 1
	s_addc_u32 s27, s25, 0
	s_add_u32 s6, s26, s20
	s_addc_u32 s7, s27, s21
	s_cmp_eq_u64 s[6:7], 0
	s_cselect_b32 s7, s27, s7
	s_cselect_b32 s6, s26, s6
	s_and_b64 s[20:21], s[6:7], s[24:25]
	s_mul_i32 s21, s21, 24
	s_mul_hi_u32 s24, s20, 24
	s_mul_i32 s20, s20, 24
	s_add_i32 s21, s24, s21
	v_mov_b32_e32 v4, s21
	s_waitcnt vmcnt(0)
	v_add_co_u32_e32 v10, vcc, s20, v6
	v_addc_co_u32_e32 v11, vcc, v7, v4, vcc
	v_mov_b32_e32 v12, s6
	global_store_dwordx2 v[10:11], v[14:15], off
	v_mov_b32_e32 v13, s7
	s_waitcnt vmcnt(0)
	global_atomic_cmpswap_x2 v[6:7], v26, v[12:15], s[12:13] offset:24 glc
	s_waitcnt vmcnt(0)
	v_cmp_ne_u64_e32 vcc, v[6:7], v[14:15]
	s_and_b64 exec, exec, vcc
	s_cbranch_execz .LBB2_28
; %bb.109:                              ;   in Loop: Header=BB2_29 Depth=1
	s_mov_b64 s[20:21], 0
.LBB2_110:                              ;   Parent Loop BB2_29 Depth=1
                                        ; =>  This Inner Loop Header: Depth=2
	s_sleep 1
	global_store_dwordx2 v[10:11], v[6:7], off
	v_mov_b32_e32 v4, s6
	v_mov_b32_e32 v5, s7
	s_waitcnt vmcnt(0)
	global_atomic_cmpswap_x2 v[4:5], v26, v[4:7], s[12:13] offset:24 glc
	s_waitcnt vmcnt(0)
	v_cmp_eq_u64_e32 vcc, v[4:5], v[6:7]
	v_mov_b32_e32 v7, v5
	s_or_b64 s[20:21], vcc, s[20:21]
	v_mov_b32_e32 v6, v4
	s_andn2_b64 exec, exec, s[20:21]
	s_cbranch_execnz .LBB2_110
	s_branch .LBB2_28
.LBB2_111:
	s_branch .LBB2_139
.LBB2_112:
                                        ; implicit-def: $vgpr2_vgpr3
	s_cbranch_execz .LBB2_139
; %bb.113:
	v_readfirstlane_b32 s6, v31
	v_mov_b32_e32 v8, 0
	v_mov_b32_e32 v9, 0
	v_cmp_eq_u32_e64 s[6:7], s6, v31
	s_and_saveexec_b64 s[14:15], s[6:7]
	s_cbranch_execz .LBB2_119
; %bb.114:
	s_waitcnt vmcnt(0)
	v_mov_b32_e32 v2, 0
	global_load_dwordx2 v[5:6], v2, s[12:13] offset:24 glc
	s_waitcnt vmcnt(0)
	buffer_wbinvl1_vol
	global_load_dwordx2 v[3:4], v2, s[12:13] offset:40
	global_load_dwordx2 v[7:8], v2, s[12:13]
	s_waitcnt vmcnt(1)
	v_and_b32_e32 v3, v3, v5
	v_and_b32_e32 v4, v4, v6
	v_mul_lo_u32 v4, v4, 24
	v_mul_hi_u32 v9, v3, 24
	v_mul_lo_u32 v3, v3, 24
	v_add_u32_e32 v4, v9, v4
	s_waitcnt vmcnt(0)
	v_add_co_u32_e32 v3, vcc, v7, v3
	v_addc_co_u32_e32 v4, vcc, v8, v4, vcc
	global_load_dwordx2 v[3:4], v[3:4], off glc
	s_waitcnt vmcnt(0)
	global_atomic_cmpswap_x2 v[8:9], v2, v[3:6], s[12:13] offset:24 glc
	s_waitcnt vmcnt(0)
	buffer_wbinvl1_vol
	v_cmp_ne_u64_e32 vcc, v[8:9], v[5:6]
	s_and_saveexec_b64 s[16:17], vcc
	s_cbranch_execz .LBB2_118
; %bb.115:
	s_mov_b64 s[18:19], 0
.LBB2_116:                              ; =>This Inner Loop Header: Depth=1
	s_sleep 1
	global_load_dwordx2 v[3:4], v2, s[12:13] offset:40
	global_load_dwordx2 v[10:11], v2, s[12:13]
	v_mov_b32_e32 v5, v8
	v_mov_b32_e32 v6, v9
	s_waitcnt vmcnt(1)
	v_and_b32_e32 v3, v3, v5
	s_waitcnt vmcnt(0)
	v_mad_u64_u32 v[7:8], s[20:21], v3, 24, v[10:11]
	v_and_b32_e32 v4, v4, v6
	v_mov_b32_e32 v3, v8
	v_mad_u64_u32 v[3:4], s[20:21], v4, 24, v[3:4]
	v_mov_b32_e32 v8, v3
	global_load_dwordx2 v[3:4], v[7:8], off glc
	s_waitcnt vmcnt(0)
	global_atomic_cmpswap_x2 v[8:9], v2, v[3:6], s[12:13] offset:24 glc
	s_waitcnt vmcnt(0)
	buffer_wbinvl1_vol
	v_cmp_eq_u64_e32 vcc, v[8:9], v[5:6]
	s_or_b64 s[18:19], vcc, s[18:19]
	s_andn2_b64 exec, exec, s[18:19]
	s_cbranch_execnz .LBB2_116
; %bb.117:
	s_or_b64 exec, exec, s[18:19]
.LBB2_118:
	s_or_b64 exec, exec, s[16:17]
.LBB2_119:
	s_or_b64 exec, exec, s[14:15]
	s_waitcnt vmcnt(0)
	v_mov_b32_e32 v2, 0
	global_load_dwordx2 v[10:11], v2, s[12:13] offset:40
	global_load_dwordx4 v[4:7], v2, s[12:13]
	v_readfirstlane_b32 s15, v9
	v_readfirstlane_b32 s14, v8
	s_mov_b64 s[16:17], exec
	s_waitcnt vmcnt(1)
	v_readfirstlane_b32 s18, v10
	v_readfirstlane_b32 s19, v11
	s_and_b64 s[18:19], s[18:19], s[14:15]
	s_mul_i32 s20, s19, 24
	s_mul_hi_u32 s21, s18, 24
	s_mul_i32 s22, s18, 24
	s_add_i32 s20, s21, s20
	v_mov_b32_e32 v3, s20
	s_waitcnt vmcnt(0)
	v_add_co_u32_e32 v8, vcc, s22, v4
	v_addc_co_u32_e32 v9, vcc, v5, v3, vcc
	s_and_saveexec_b64 s[20:21], s[6:7]
	s_cbranch_execz .LBB2_121
; %bb.120:
	v_mov_b32_e32 v10, s16
	v_mov_b32_e32 v11, s17
	v_mov_b32_e32 v12, 2
	v_mov_b32_e32 v13, 1
	global_store_dwordx4 v[8:9], v[10:13], off offset:8
.LBB2_121:
	s_or_b64 exec, exec, s[20:21]
	s_lshl_b64 s[16:17], s[18:19], 12
	v_mov_b32_e32 v3, s17
	v_add_co_u32_e32 v10, vcc, s16, v6
	v_addc_co_u32_e32 v11, vcc, v7, v3, vcc
	s_movk_i32 s16, 0xff1f
	v_and_or_b32 v0, v0, s16, 32
	s_mov_b32 s16, 0
	v_mov_b32_e32 v3, v2
	v_readfirstlane_b32 s20, v10
	v_readfirstlane_b32 s21, v11
	v_add_co_u32_e32 v6, vcc, v10, v30
	s_mov_b32 s17, s16
	s_mov_b32 s18, s16
	;; [unrolled: 1-line block ×3, first 2 shown]
	s_nop 0
	global_store_dwordx4 v30, v[0:3], s[20:21]
	v_addc_co_u32_e32 v7, vcc, 0, v11, vcc
	v_mov_b32_e32 v0, s16
	v_mov_b32_e32 v1, s17
	v_mov_b32_e32 v2, s18
	v_mov_b32_e32 v3, s19
	global_store_dwordx4 v30, v[0:3], s[20:21] offset:16
	global_store_dwordx4 v30, v[0:3], s[20:21] offset:32
	;; [unrolled: 1-line block ×3, first 2 shown]
	s_and_saveexec_b64 s[16:17], s[6:7]
	s_cbranch_execz .LBB2_129
; %bb.122:
	v_mov_b32_e32 v10, 0
	global_load_dwordx2 v[13:14], v10, s[12:13] offset:32 glc
	global_load_dwordx2 v[0:1], v10, s[12:13] offset:40
	v_mov_b32_e32 v11, s14
	v_mov_b32_e32 v12, s15
	s_waitcnt vmcnt(0)
	v_readfirstlane_b32 s18, v0
	v_readfirstlane_b32 s19, v1
	s_and_b64 s[18:19], s[18:19], s[14:15]
	s_mul_i32 s19, s19, 24
	s_mul_hi_u32 s20, s18, 24
	s_mul_i32 s18, s18, 24
	s_add_i32 s19, s20, s19
	v_mov_b32_e32 v0, s19
	v_add_co_u32_e32 v4, vcc, s18, v4
	v_addc_co_u32_e32 v5, vcc, v5, v0, vcc
	global_store_dwordx2 v[4:5], v[13:14], off
	s_waitcnt vmcnt(0)
	global_atomic_cmpswap_x2 v[2:3], v10, v[11:14], s[12:13] offset:32 glc
	s_waitcnt vmcnt(0)
	v_cmp_ne_u64_e32 vcc, v[2:3], v[13:14]
	s_and_saveexec_b64 s[18:19], vcc
	s_cbranch_execz .LBB2_125
; %bb.123:
	s_mov_b64 s[20:21], 0
.LBB2_124:                              ; =>This Inner Loop Header: Depth=1
	s_sleep 1
	global_store_dwordx2 v[4:5], v[2:3], off
	v_mov_b32_e32 v0, s14
	v_mov_b32_e32 v1, s15
	s_waitcnt vmcnt(0)
	global_atomic_cmpswap_x2 v[0:1], v10, v[0:3], s[12:13] offset:32 glc
	s_waitcnt vmcnt(0)
	v_cmp_eq_u64_e32 vcc, v[0:1], v[2:3]
	v_mov_b32_e32 v3, v1
	s_or_b64 s[20:21], vcc, s[20:21]
	v_mov_b32_e32 v2, v0
	s_andn2_b64 exec, exec, s[20:21]
	s_cbranch_execnz .LBB2_124
.LBB2_125:
	s_or_b64 exec, exec, s[18:19]
	v_mov_b32_e32 v3, 0
	global_load_dwordx2 v[0:1], v3, s[12:13] offset:16
	s_mov_b64 s[18:19], exec
	v_mbcnt_lo_u32_b32 v2, s18, 0
	v_mbcnt_hi_u32_b32 v2, s19, v2
	v_cmp_eq_u32_e32 vcc, 0, v2
	s_and_saveexec_b64 s[20:21], vcc
	s_cbranch_execz .LBB2_127
; %bb.126:
	s_bcnt1_i32_b64 s18, s[18:19]
	v_mov_b32_e32 v2, s18
	s_waitcnt vmcnt(0)
	global_atomic_add_x2 v[0:1], v[2:3], off offset:8
.LBB2_127:
	s_or_b64 exec, exec, s[20:21]
	s_waitcnt vmcnt(0)
	global_load_dwordx2 v[2:3], v[0:1], off offset:16
	s_waitcnt vmcnt(0)
	v_cmp_eq_u64_e32 vcc, 0, v[2:3]
	s_cbranch_vccnz .LBB2_129
; %bb.128:
	global_load_dword v0, v[0:1], off offset:24
	v_mov_b32_e32 v1, 0
	s_waitcnt vmcnt(0)
	v_readfirstlane_b32 s18, v0
	s_and_b32 m0, s18, 0xffffff
	global_store_dwordx2 v[2:3], v[0:1], off
	s_sendmsg sendmsg(MSG_INTERRUPT)
.LBB2_129:
	s_or_b64 exec, exec, s[16:17]
	s_branch .LBB2_133
.LBB2_130:                              ;   in Loop: Header=BB2_133 Depth=1
	s_or_b64 exec, exec, s[16:17]
	v_readfirstlane_b32 s16, v0
	s_cmp_eq_u32 s16, 0
	s_cbranch_scc1 .LBB2_132
; %bb.131:                              ;   in Loop: Header=BB2_133 Depth=1
	s_sleep 1
	s_cbranch_execnz .LBB2_133
	s_branch .LBB2_135
.LBB2_132:
	s_branch .LBB2_135
.LBB2_133:                              ; =>This Inner Loop Header: Depth=1
	v_mov_b32_e32 v0, 1
	s_and_saveexec_b64 s[16:17], s[6:7]
	s_cbranch_execz .LBB2_130
; %bb.134:                              ;   in Loop: Header=BB2_133 Depth=1
	global_load_dword v0, v[8:9], off offset:20 glc
	s_waitcnt vmcnt(0)
	buffer_wbinvl1_vol
	v_and_b32_e32 v0, 1, v0
	s_branch .LBB2_130
.LBB2_135:
	global_load_dwordx2 v[2:3], v[6:7], off
	s_and_saveexec_b64 s[16:17], s[6:7]
	s_cbranch_execz .LBB2_138
; %bb.136:
	v_mov_b32_e32 v8, 0
	global_load_dwordx2 v[0:1], v8, s[12:13] offset:40
	global_load_dwordx2 v[11:12], v8, s[12:13] offset:24 glc
	global_load_dwordx2 v[4:5], v8, s[12:13]
	s_waitcnt vmcnt(2)
	v_readfirstlane_b32 s18, v0
	v_readfirstlane_b32 s19, v1
	s_add_u32 s20, s18, 1
	s_addc_u32 s21, s19, 0
	s_add_u32 s6, s20, s14
	s_addc_u32 s7, s21, s15
	s_cmp_eq_u64 s[6:7], 0
	s_cselect_b32 s7, s21, s7
	s_cselect_b32 s6, s20, s6
	s_and_b64 s[14:15], s[6:7], s[18:19]
	s_mul_i32 s15, s15, 24
	s_mul_hi_u32 s18, s14, 24
	s_mul_i32 s14, s14, 24
	s_add_i32 s15, s18, s15
	v_mov_b32_e32 v1, s15
	s_waitcnt vmcnt(0)
	v_add_co_u32_e32 v0, vcc, s14, v4
	v_addc_co_u32_e32 v1, vcc, v5, v1, vcc
	v_mov_b32_e32 v9, s6
	global_store_dwordx2 v[0:1], v[11:12], off
	v_mov_b32_e32 v10, s7
	s_waitcnt vmcnt(0)
	global_atomic_cmpswap_x2 v[6:7], v8, v[9:12], s[12:13] offset:24 glc
	s_mov_b64 s[14:15], 0
	s_waitcnt vmcnt(0)
	v_cmp_ne_u64_e32 vcc, v[6:7], v[11:12]
	s_and_b64 exec, exec, vcc
	s_cbranch_execz .LBB2_138
.LBB2_137:                              ; =>This Inner Loop Header: Depth=1
	s_sleep 1
	global_store_dwordx2 v[0:1], v[6:7], off
	v_mov_b32_e32 v4, s6
	v_mov_b32_e32 v5, s7
	s_waitcnt vmcnt(0)
	global_atomic_cmpswap_x2 v[4:5], v8, v[4:7], s[12:13] offset:24 glc
	s_waitcnt vmcnt(0)
	v_cmp_eq_u64_e32 vcc, v[4:5], v[6:7]
	v_mov_b32_e32 v7, v5
	s_or_b64 s[14:15], vcc, s[14:15]
	v_mov_b32_e32 v6, v4
	s_andn2_b64 exec, exec, s[14:15]
	s_cbranch_execnz .LBB2_137
.LBB2_138:
	s_or_b64 exec, exec, s[16:17]
.LBB2_139:
	v_readfirstlane_b32 s6, v31
	s_waitcnt vmcnt(0)
	v_mov_b32_e32 v0, 0
	v_mov_b32_e32 v1, 0
	v_cmp_eq_u32_e64 s[6:7], s6, v31
	s_and_saveexec_b64 s[14:15], s[6:7]
	s_cbranch_execz .LBB2_145
; %bb.140:
	v_mov_b32_e32 v4, 0
	global_load_dwordx2 v[7:8], v4, s[12:13] offset:24 glc
	s_waitcnt vmcnt(0)
	buffer_wbinvl1_vol
	global_load_dwordx2 v[0:1], v4, s[12:13] offset:40
	global_load_dwordx2 v[5:6], v4, s[12:13]
	s_waitcnt vmcnt(1)
	v_and_b32_e32 v0, v0, v7
	v_and_b32_e32 v1, v1, v8
	v_mul_lo_u32 v1, v1, 24
	v_mul_hi_u32 v9, v0, 24
	v_mul_lo_u32 v0, v0, 24
	v_add_u32_e32 v1, v9, v1
	s_waitcnt vmcnt(0)
	v_add_co_u32_e32 v0, vcc, v5, v0
	v_addc_co_u32_e32 v1, vcc, v6, v1, vcc
	global_load_dwordx2 v[5:6], v[0:1], off glc
	s_waitcnt vmcnt(0)
	global_atomic_cmpswap_x2 v[0:1], v4, v[5:8], s[12:13] offset:24 glc
	s_waitcnt vmcnt(0)
	buffer_wbinvl1_vol
	v_cmp_ne_u64_e32 vcc, v[0:1], v[7:8]
	s_and_saveexec_b64 s[16:17], vcc
	s_cbranch_execz .LBB2_144
; %bb.141:
	s_mov_b64 s[18:19], 0
.LBB2_142:                              ; =>This Inner Loop Header: Depth=1
	s_sleep 1
	global_load_dwordx2 v[5:6], v4, s[12:13] offset:40
	global_load_dwordx2 v[9:10], v4, s[12:13]
	v_mov_b32_e32 v8, v1
	v_mov_b32_e32 v7, v0
	s_waitcnt vmcnt(1)
	v_and_b32_e32 v0, v5, v7
	s_waitcnt vmcnt(0)
	v_mad_u64_u32 v[0:1], s[20:21], v0, 24, v[9:10]
	v_and_b32_e32 v5, v6, v8
	v_mad_u64_u32 v[5:6], s[20:21], v5, 24, v[1:2]
	v_mov_b32_e32 v1, v5
	global_load_dwordx2 v[5:6], v[0:1], off glc
	s_waitcnt vmcnt(0)
	global_atomic_cmpswap_x2 v[0:1], v4, v[5:8], s[12:13] offset:24 glc
	s_waitcnt vmcnt(0)
	buffer_wbinvl1_vol
	v_cmp_eq_u64_e32 vcc, v[0:1], v[7:8]
	s_or_b64 s[18:19], vcc, s[18:19]
	s_andn2_b64 exec, exec, s[18:19]
	s_cbranch_execnz .LBB2_142
; %bb.143:
	s_or_b64 exec, exec, s[18:19]
.LBB2_144:
	s_or_b64 exec, exec, s[16:17]
.LBB2_145:
	s_or_b64 exec, exec, s[14:15]
	v_mov_b32_e32 v5, 0
	global_load_dwordx2 v[10:11], v5, s[12:13] offset:40
	global_load_dwordx4 v[6:9], v5, s[12:13]
	v_readfirstlane_b32 s15, v1
	v_readfirstlane_b32 s14, v0
	s_mov_b64 s[16:17], exec
	s_waitcnt vmcnt(1)
	v_readfirstlane_b32 s18, v10
	v_readfirstlane_b32 s19, v11
	s_and_b64 s[18:19], s[18:19], s[14:15]
	s_mul_i32 s20, s19, 24
	s_mul_hi_u32 s21, s18, 24
	s_mul_i32 s22, s18, 24
	s_add_i32 s20, s21, s20
	v_mov_b32_e32 v0, s20
	s_waitcnt vmcnt(0)
	v_add_co_u32_e32 v10, vcc, s22, v6
	v_addc_co_u32_e32 v11, vcc, v7, v0, vcc
	s_and_saveexec_b64 s[20:21], s[6:7]
	s_cbranch_execz .LBB2_147
; %bb.146:
	v_mov_b32_e32 v12, s16
	v_mov_b32_e32 v13, s17
	;; [unrolled: 1-line block ×4, first 2 shown]
	global_store_dwordx4 v[10:11], v[12:15], off offset:8
.LBB2_147:
	s_or_b64 exec, exec, s[20:21]
	s_lshl_b64 s[16:17], s[18:19], 12
	v_mov_b32_e32 v0, s17
	v_add_co_u32_e32 v1, vcc, s16, v8
	s_mul_i32 s16, s28, s29
	s_and_b32 s17, 0xffff, s30
	s_mul_i32 s16, s16, s17
	v_addc_co_u32_e32 v0, vcc, v9, v0, vcc
	s_lshr_b32 s17, s16, 3
	s_movk_i32 s18, 0xff1f
	s_mov_b32 s16, 0
	v_and_or_b32 v2, v2, s18, 32
	v_add_co_u32_e32 v8, vcc, v1, v30
	v_mov_b32_e32 v4, s17
	v_readfirstlane_b32 s20, v1
	v_readfirstlane_b32 s21, v0
	v_addc_co_u32_e32 v9, vcc, 0, v0, vcc
	s_mov_b32 s17, s16
	s_mov_b32 s18, s16
	;; [unrolled: 1-line block ×3, first 2 shown]
	s_nop 0
	global_store_dwordx4 v30, v[2:5], s[20:21]
	v_mov_b32_e32 v0, s16
	v_mov_b32_e32 v1, s17
	;; [unrolled: 1-line block ×4, first 2 shown]
	global_store_dwordx4 v30, v[0:3], s[20:21] offset:16
	global_store_dwordx4 v30, v[0:3], s[20:21] offset:32
	;; [unrolled: 1-line block ×3, first 2 shown]
	s_and_saveexec_b64 s[16:17], s[6:7]
	s_cbranch_execz .LBB2_155
; %bb.148:
	v_mov_b32_e32 v12, 0
	global_load_dwordx2 v[15:16], v12, s[12:13] offset:32 glc
	global_load_dwordx2 v[0:1], v12, s[12:13] offset:40
	v_mov_b32_e32 v13, s14
	v_mov_b32_e32 v14, s15
	s_waitcnt vmcnt(0)
	v_readfirstlane_b32 s18, v0
	v_readfirstlane_b32 s19, v1
	s_and_b64 s[18:19], s[18:19], s[14:15]
	s_mul_i32 s19, s19, 24
	s_mul_hi_u32 s20, s18, 24
	s_mul_i32 s18, s18, 24
	s_add_i32 s19, s20, s19
	v_mov_b32_e32 v0, s19
	v_add_co_u32_e32 v4, vcc, s18, v6
	v_addc_co_u32_e32 v5, vcc, v7, v0, vcc
	global_store_dwordx2 v[4:5], v[15:16], off
	s_waitcnt vmcnt(0)
	global_atomic_cmpswap_x2 v[2:3], v12, v[13:16], s[12:13] offset:32 glc
	s_waitcnt vmcnt(0)
	v_cmp_ne_u64_e32 vcc, v[2:3], v[15:16]
	s_and_saveexec_b64 s[18:19], vcc
	s_cbranch_execz .LBB2_151
; %bb.149:
	s_mov_b64 s[20:21], 0
.LBB2_150:                              ; =>This Inner Loop Header: Depth=1
	s_sleep 1
	global_store_dwordx2 v[4:5], v[2:3], off
	v_mov_b32_e32 v0, s14
	v_mov_b32_e32 v1, s15
	s_waitcnt vmcnt(0)
	global_atomic_cmpswap_x2 v[0:1], v12, v[0:3], s[12:13] offset:32 glc
	s_waitcnt vmcnt(0)
	v_cmp_eq_u64_e32 vcc, v[0:1], v[2:3]
	v_mov_b32_e32 v3, v1
	s_or_b64 s[20:21], vcc, s[20:21]
	v_mov_b32_e32 v2, v0
	s_andn2_b64 exec, exec, s[20:21]
	s_cbranch_execnz .LBB2_150
.LBB2_151:
	s_or_b64 exec, exec, s[18:19]
	v_mov_b32_e32 v3, 0
	global_load_dwordx2 v[0:1], v3, s[12:13] offset:16
	s_mov_b64 s[18:19], exec
	v_mbcnt_lo_u32_b32 v2, s18, 0
	v_mbcnt_hi_u32_b32 v2, s19, v2
	v_cmp_eq_u32_e32 vcc, 0, v2
	s_and_saveexec_b64 s[20:21], vcc
	s_cbranch_execz .LBB2_153
; %bb.152:
	s_bcnt1_i32_b64 s18, s[18:19]
	v_mov_b32_e32 v2, s18
	s_waitcnt vmcnt(0)
	global_atomic_add_x2 v[0:1], v[2:3], off offset:8
.LBB2_153:
	s_or_b64 exec, exec, s[20:21]
	s_waitcnt vmcnt(0)
	global_load_dwordx2 v[2:3], v[0:1], off offset:16
	s_waitcnt vmcnt(0)
	v_cmp_eq_u64_e32 vcc, 0, v[2:3]
	s_cbranch_vccnz .LBB2_155
; %bb.154:
	global_load_dword v0, v[0:1], off offset:24
	v_mov_b32_e32 v1, 0
	s_waitcnt vmcnt(0)
	v_readfirstlane_b32 s18, v0
	s_and_b32 m0, s18, 0xffffff
	global_store_dwordx2 v[2:3], v[0:1], off
	s_sendmsg sendmsg(MSG_INTERRUPT)
.LBB2_155:
	s_or_b64 exec, exec, s[16:17]
	s_branch .LBB2_159
.LBB2_156:                              ;   in Loop: Header=BB2_159 Depth=1
	s_or_b64 exec, exec, s[16:17]
	v_readfirstlane_b32 s16, v0
	s_cmp_eq_u32 s16, 0
	s_cbranch_scc1 .LBB2_158
; %bb.157:                              ;   in Loop: Header=BB2_159 Depth=1
	s_sleep 1
	s_cbranch_execnz .LBB2_159
	s_branch .LBB2_161
.LBB2_158:
	s_branch .LBB2_161
.LBB2_159:                              ; =>This Inner Loop Header: Depth=1
	v_mov_b32_e32 v0, 1
	s_and_saveexec_b64 s[16:17], s[6:7]
	s_cbranch_execz .LBB2_156
; %bb.160:                              ;   in Loop: Header=BB2_159 Depth=1
	global_load_dword v0, v[10:11], off offset:20 glc
	s_waitcnt vmcnt(0)
	buffer_wbinvl1_vol
	v_and_b32_e32 v0, 1, v0
	s_branch .LBB2_156
.LBB2_161:
	global_load_dwordx2 v[0:1], v[8:9], off
	s_and_saveexec_b64 s[16:17], s[6:7]
	s_cbranch_execz .LBB2_164
; %bb.162:
	v_mov_b32_e32 v8, 0
	global_load_dwordx2 v[2:3], v8, s[12:13] offset:40
	global_load_dwordx2 v[11:12], v8, s[12:13] offset:24 glc
	global_load_dwordx2 v[4:5], v8, s[12:13]
	s_waitcnt vmcnt(2)
	v_readfirstlane_b32 s18, v2
	v_readfirstlane_b32 s19, v3
	s_add_u32 s20, s18, 1
	s_addc_u32 s21, s19, 0
	s_add_u32 s6, s20, s14
	s_addc_u32 s7, s21, s15
	s_cmp_eq_u64 s[6:7], 0
	s_cselect_b32 s7, s21, s7
	s_cselect_b32 s6, s20, s6
	s_and_b64 s[14:15], s[6:7], s[18:19]
	s_mul_i32 s15, s15, 24
	s_mul_hi_u32 s18, s14, 24
	s_mul_i32 s14, s14, 24
	s_add_i32 s15, s18, s15
	v_mov_b32_e32 v2, s15
	s_waitcnt vmcnt(0)
	v_add_co_u32_e32 v6, vcc, s14, v4
	v_addc_co_u32_e32 v7, vcc, v5, v2, vcc
	v_mov_b32_e32 v9, s6
	global_store_dwordx2 v[6:7], v[11:12], off
	v_mov_b32_e32 v10, s7
	s_waitcnt vmcnt(0)
	global_atomic_cmpswap_x2 v[4:5], v8, v[9:12], s[12:13] offset:24 glc
	s_mov_b64 s[14:15], 0
	s_waitcnt vmcnt(0)
	v_cmp_ne_u64_e32 vcc, v[4:5], v[11:12]
	s_and_b64 exec, exec, vcc
	s_cbranch_execz .LBB2_164
.LBB2_163:                              ; =>This Inner Loop Header: Depth=1
	s_sleep 1
	global_store_dwordx2 v[6:7], v[4:5], off
	v_mov_b32_e32 v2, s6
	v_mov_b32_e32 v3, s7
	s_waitcnt vmcnt(0)
	global_atomic_cmpswap_x2 v[2:3], v8, v[2:5], s[12:13] offset:24 glc
	s_waitcnt vmcnt(0)
	v_cmp_eq_u64_e32 vcc, v[2:3], v[4:5]
	v_mov_b32_e32 v5, v3
	s_or_b64 s[14:15], vcc, s[14:15]
	v_mov_b32_e32 v4, v2
	s_andn2_b64 exec, exec, s[14:15]
	s_cbranch_execnz .LBB2_163
.LBB2_164:
	s_or_b64 exec, exec, s[16:17]
	v_readfirstlane_b32 s6, v31
	v_mov_b32_e32 v8, 0
	v_mov_b32_e32 v9, 0
	v_cmp_eq_u32_e64 s[6:7], s6, v31
	s_and_saveexec_b64 s[14:15], s[6:7]
	s_cbranch_execz .LBB2_170
; %bb.165:
	v_mov_b32_e32 v2, 0
	global_load_dwordx2 v[5:6], v2, s[12:13] offset:24 glc
	s_waitcnt vmcnt(0)
	buffer_wbinvl1_vol
	global_load_dwordx2 v[3:4], v2, s[12:13] offset:40
	global_load_dwordx2 v[7:8], v2, s[12:13]
	s_waitcnt vmcnt(1)
	v_and_b32_e32 v3, v3, v5
	v_and_b32_e32 v4, v4, v6
	v_mul_lo_u32 v4, v4, 24
	v_mul_hi_u32 v9, v3, 24
	v_mul_lo_u32 v3, v3, 24
	v_add_u32_e32 v4, v9, v4
	s_waitcnt vmcnt(0)
	v_add_co_u32_e32 v3, vcc, v7, v3
	v_addc_co_u32_e32 v4, vcc, v8, v4, vcc
	global_load_dwordx2 v[3:4], v[3:4], off glc
	s_waitcnt vmcnt(0)
	global_atomic_cmpswap_x2 v[8:9], v2, v[3:6], s[12:13] offset:24 glc
	s_waitcnt vmcnt(0)
	buffer_wbinvl1_vol
	v_cmp_ne_u64_e32 vcc, v[8:9], v[5:6]
	s_and_saveexec_b64 s[16:17], vcc
	s_cbranch_execz .LBB2_169
; %bb.166:
	s_mov_b64 s[18:19], 0
.LBB2_167:                              ; =>This Inner Loop Header: Depth=1
	s_sleep 1
	global_load_dwordx2 v[3:4], v2, s[12:13] offset:40
	global_load_dwordx2 v[10:11], v2, s[12:13]
	v_mov_b32_e32 v5, v8
	v_mov_b32_e32 v6, v9
	s_waitcnt vmcnt(1)
	v_and_b32_e32 v3, v3, v5
	s_waitcnt vmcnt(0)
	v_mad_u64_u32 v[7:8], s[20:21], v3, 24, v[10:11]
	v_and_b32_e32 v4, v4, v6
	v_mov_b32_e32 v3, v8
	v_mad_u64_u32 v[3:4], s[20:21], v4, 24, v[3:4]
	v_mov_b32_e32 v8, v3
	global_load_dwordx2 v[3:4], v[7:8], off glc
	s_waitcnt vmcnt(0)
	global_atomic_cmpswap_x2 v[8:9], v2, v[3:6], s[12:13] offset:24 glc
	s_waitcnt vmcnt(0)
	buffer_wbinvl1_vol
	v_cmp_eq_u64_e32 vcc, v[8:9], v[5:6]
	s_or_b64 s[18:19], vcc, s[18:19]
	s_andn2_b64 exec, exec, s[18:19]
	s_cbranch_execnz .LBB2_167
; %bb.168:
	s_or_b64 exec, exec, s[18:19]
.LBB2_169:
	s_or_b64 exec, exec, s[16:17]
.LBB2_170:
	s_or_b64 exec, exec, s[14:15]
	v_mov_b32_e32 v3, 0
	global_load_dwordx2 v[10:11], v3, s[12:13] offset:40
	global_load_dwordx4 v[4:7], v3, s[12:13]
	v_readfirstlane_b32 s15, v9
	v_readfirstlane_b32 s14, v8
	s_mov_b64 s[16:17], exec
	s_waitcnt vmcnt(1)
	v_readfirstlane_b32 s18, v10
	v_readfirstlane_b32 s19, v11
	s_and_b64 s[18:19], s[18:19], s[14:15]
	s_mul_i32 s20, s19, 24
	s_mul_hi_u32 s21, s18, 24
	s_mul_i32 s22, s18, 24
	s_add_i32 s20, s21, s20
	v_mov_b32_e32 v2, s20
	s_waitcnt vmcnt(0)
	v_add_co_u32_e32 v8, vcc, s22, v4
	v_addc_co_u32_e32 v9, vcc, v5, v2, vcc
	s_and_saveexec_b64 s[20:21], s[6:7]
	s_cbranch_execz .LBB2_172
; %bb.171:
	v_mov_b32_e32 v10, s16
	v_mov_b32_e32 v11, s17
	v_mov_b32_e32 v12, 2
	v_mov_b32_e32 v13, 1
	global_store_dwordx4 v[8:9], v[10:13], off offset:8
.LBB2_172:
	s_or_b64 exec, exec, s[20:21]
	s_lshl_b64 s[16:17], s[18:19], 12
	v_mov_b32_e32 v2, s17
	v_add_co_u32_e32 v6, vcc, s16, v6
	v_addc_co_u32_e32 v7, vcc, v7, v2, vcc
	s_movk_i32 s16, 0xff1d
	v_and_or_b32 v0, v0, s16, 34
	s_mov_b32 s16, 0
	v_mov_b32_e32 v2, 8
	v_readfirstlane_b32 s20, v6
	v_readfirstlane_b32 s21, v7
	s_mov_b32 s17, s16
	s_mov_b32 s18, s16
	;; [unrolled: 1-line block ×3, first 2 shown]
	s_nop 1
	global_store_dwordx4 v30, v[0:3], s[20:21]
	s_nop 0
	v_mov_b32_e32 v0, s16
	v_mov_b32_e32 v1, s17
	;; [unrolled: 1-line block ×4, first 2 shown]
	global_store_dwordx4 v30, v[0:3], s[20:21] offset:16
	global_store_dwordx4 v30, v[0:3], s[20:21] offset:32
	;; [unrolled: 1-line block ×3, first 2 shown]
	s_and_saveexec_b64 s[16:17], s[6:7]
	s_cbranch_execz .LBB2_180
; %bb.173:
	v_mov_b32_e32 v6, 0
	global_load_dwordx2 v[12:13], v6, s[12:13] offset:32 glc
	global_load_dwordx2 v[0:1], v6, s[12:13] offset:40
	v_mov_b32_e32 v10, s14
	v_mov_b32_e32 v11, s15
	s_waitcnt vmcnt(0)
	v_readfirstlane_b32 s18, v0
	v_readfirstlane_b32 s19, v1
	s_and_b64 s[18:19], s[18:19], s[14:15]
	s_mul_i32 s19, s19, 24
	s_mul_hi_u32 s20, s18, 24
	s_mul_i32 s18, s18, 24
	s_add_i32 s19, s20, s19
	v_mov_b32_e32 v0, s19
	v_add_co_u32_e32 v4, vcc, s18, v4
	v_addc_co_u32_e32 v5, vcc, v5, v0, vcc
	global_store_dwordx2 v[4:5], v[12:13], off
	s_waitcnt vmcnt(0)
	global_atomic_cmpswap_x2 v[2:3], v6, v[10:13], s[12:13] offset:32 glc
	s_waitcnt vmcnt(0)
	v_cmp_ne_u64_e32 vcc, v[2:3], v[12:13]
	s_and_saveexec_b64 s[18:19], vcc
	s_cbranch_execz .LBB2_176
; %bb.174:
	s_mov_b64 s[20:21], 0
.LBB2_175:                              ; =>This Inner Loop Header: Depth=1
	s_sleep 1
	global_store_dwordx2 v[4:5], v[2:3], off
	v_mov_b32_e32 v0, s14
	v_mov_b32_e32 v1, s15
	s_waitcnt vmcnt(0)
	global_atomic_cmpswap_x2 v[0:1], v6, v[0:3], s[12:13] offset:32 glc
	s_waitcnt vmcnt(0)
	v_cmp_eq_u64_e32 vcc, v[0:1], v[2:3]
	v_mov_b32_e32 v3, v1
	s_or_b64 s[20:21], vcc, s[20:21]
	v_mov_b32_e32 v2, v0
	s_andn2_b64 exec, exec, s[20:21]
	s_cbranch_execnz .LBB2_175
.LBB2_176:
	s_or_b64 exec, exec, s[18:19]
	v_mov_b32_e32 v3, 0
	global_load_dwordx2 v[0:1], v3, s[12:13] offset:16
	s_mov_b64 s[18:19], exec
	v_mbcnt_lo_u32_b32 v2, s18, 0
	v_mbcnt_hi_u32_b32 v2, s19, v2
	v_cmp_eq_u32_e32 vcc, 0, v2
	s_and_saveexec_b64 s[20:21], vcc
	s_cbranch_execz .LBB2_178
; %bb.177:
	s_bcnt1_i32_b64 s18, s[18:19]
	v_mov_b32_e32 v2, s18
	s_waitcnt vmcnt(0)
	global_atomic_add_x2 v[0:1], v[2:3], off offset:8
.LBB2_178:
	s_or_b64 exec, exec, s[20:21]
	s_waitcnt vmcnt(0)
	global_load_dwordx2 v[2:3], v[0:1], off offset:16
	s_waitcnt vmcnt(0)
	v_cmp_eq_u64_e32 vcc, 0, v[2:3]
	s_cbranch_vccnz .LBB2_180
; %bb.179:
	global_load_dword v0, v[0:1], off offset:24
	v_mov_b32_e32 v1, 0
	s_waitcnt vmcnt(0)
	v_readfirstlane_b32 s18, v0
	s_and_b32 m0, s18, 0xffffff
	global_store_dwordx2 v[2:3], v[0:1], off
	s_sendmsg sendmsg(MSG_INTERRUPT)
.LBB2_180:
	s_or_b64 exec, exec, s[16:17]
	s_branch .LBB2_184
.LBB2_181:                              ;   in Loop: Header=BB2_184 Depth=1
	s_or_b64 exec, exec, s[16:17]
	v_readfirstlane_b32 s16, v0
	s_cmp_eq_u32 s16, 0
	s_cbranch_scc1 .LBB2_183
; %bb.182:                              ;   in Loop: Header=BB2_184 Depth=1
	s_sleep 1
	s_cbranch_execnz .LBB2_184
	s_branch .LBB2_186
.LBB2_183:
	s_branch .LBB2_186
.LBB2_184:                              ; =>This Inner Loop Header: Depth=1
	v_mov_b32_e32 v0, 1
	s_and_saveexec_b64 s[16:17], s[6:7]
	s_cbranch_execz .LBB2_181
; %bb.185:                              ;   in Loop: Header=BB2_184 Depth=1
	global_load_dword v0, v[8:9], off offset:20 glc
	s_waitcnt vmcnt(0)
	buffer_wbinvl1_vol
	v_and_b32_e32 v0, 1, v0
	s_branch .LBB2_181
.LBB2_186:
	s_and_b64 exec, exec, s[6:7]
	s_cbranch_execz .LBB2_189
; %bb.187:
	v_mov_b32_e32 v6, 0
	global_load_dwordx2 v[0:1], v6, s[12:13] offset:40
	global_load_dwordx2 v[9:10], v6, s[12:13] offset:24 glc
	global_load_dwordx2 v[2:3], v6, s[12:13]
	s_waitcnt vmcnt(2)
	v_readfirstlane_b32 s16, v0
	v_readfirstlane_b32 s17, v1
	s_add_u32 s18, s16, 1
	s_addc_u32 s19, s17, 0
	s_add_u32 s6, s18, s14
	s_addc_u32 s7, s19, s15
	s_cmp_eq_u64 s[6:7], 0
	s_cselect_b32 s7, s19, s7
	s_cselect_b32 s6, s18, s6
	s_and_b64 s[14:15], s[6:7], s[16:17]
	s_mul_i32 s15, s15, 24
	s_mul_hi_u32 s16, s14, 24
	s_mul_i32 s14, s14, 24
	s_add_i32 s15, s16, s15
	v_mov_b32_e32 v0, s15
	s_waitcnt vmcnt(0)
	v_add_co_u32_e32 v4, vcc, s14, v2
	v_addc_co_u32_e32 v5, vcc, v3, v0, vcc
	v_mov_b32_e32 v7, s6
	global_store_dwordx2 v[4:5], v[9:10], off
	v_mov_b32_e32 v8, s7
	s_waitcnt vmcnt(0)
	global_atomic_cmpswap_x2 v[2:3], v6, v[7:10], s[12:13] offset:24 glc
	s_mov_b64 s[14:15], 0
	s_waitcnt vmcnt(0)
	v_cmp_ne_u64_e32 vcc, v[2:3], v[9:10]
	s_and_b64 exec, exec, vcc
	s_cbranch_execz .LBB2_189
.LBB2_188:                              ; =>This Inner Loop Header: Depth=1
	s_sleep 1
	global_store_dwordx2 v[4:5], v[2:3], off
	v_mov_b32_e32 v0, s6
	v_mov_b32_e32 v1, s7
	s_waitcnt vmcnt(0)
	global_atomic_cmpswap_x2 v[0:1], v6, v[0:3], s[12:13] offset:24 glc
	s_waitcnt vmcnt(0)
	v_cmp_eq_u64_e32 vcc, v[0:1], v[2:3]
	v_mov_b32_e32 v3, v1
	s_or_b64 s[14:15], vcc, s[14:15]
	v_mov_b32_e32 v2, v0
	s_andn2_b64 exec, exec, s[14:15]
	s_cbranch_execnz .LBB2_188
.LBB2_189:
	s_or_b64 exec, exec, s[10:11]
	s_waitcnt vmcnt(0) lgkmcnt(0)
	s_barrier
	s_load_dword s12, s[4:5], 0x8
	s_load_dwordx2 s[6:7], s[4:5], 0x0
	v_and_b32_e32 v0, 7, v29
	s_waitcnt lgkmcnt(0)
	s_cmp_lt_i32 s12, 1
	s_cbranch_scc1 .LBB2_199
; %bb.190:
	s_cmp_lt_i32 s12, 2
	s_cbranch_scc1 .LBB2_200
; %bb.191:
	s_cmp_eq_u32 s12, 2
                                        ; implicit-def: $vgpr2
	s_cbranch_scc0 .LBB2_398
; %bb.192:
	s_mov_b64 s[4:5], src_private_base
	s_mov_b32 s4, 0
	v_mov_b32_e32 v1, s4
	v_mov_b32_e32 v2, s5
	flat_store_dword v[1:2], v0
	s_waitcnt vmcnt(0)
	flat_load_dword v3, v[1:2] glc
	s_waitcnt vmcnt(0)
	v_mbcnt_lo_u32_b32 v1, -1, 0
	v_mbcnt_hi_u32_b32 v1, -1, v1
	v_and_b32_e32 v2, 0x78, v1
	v_add_u32_e32 v4, -1, v1
	v_cmp_lt_i32_e32 vcc, v4, v2
	v_cndmask_b32_e32 v4, v4, v1, vcc
	v_lshlrev_b32_e32 v4, 2, v4
	v_cmp_ne_u32_e32 vcc, 0, v0
	s_waitcnt lgkmcnt(0)
	ds_bpermute_b32 v3, v4, v3
	s_and_saveexec_b64 s[10:11], vcc
	s_cbranch_execz .LBB2_194
; %bb.193:
	v_mov_b32_e32 v4, s4
	v_mov_b32_e32 v5, s5
	flat_load_dword v6, v[4:5] glc
	s_waitcnt vmcnt(0) lgkmcnt(0)
	v_add_u32_e32 v3, v6, v3
	flat_store_dword v[4:5], v3
	s_waitcnt vmcnt(0)
.LBB2_194:
	s_or_b64 exec, exec, s[10:11]
	s_waitcnt lgkmcnt(0)
	v_mov_b32_e32 v3, s4
	v_mov_b32_e32 v4, s5
	flat_load_dword v3, v[3:4] glc
	s_waitcnt vmcnt(0)
	v_add_u32_e32 v4, -2, v1
	v_cmp_lt_i32_e32 vcc, v4, v2
	v_cndmask_b32_e32 v4, v4, v1, vcc
	v_lshlrev_b32_e32 v4, 2, v4
	v_cmp_lt_u32_e32 vcc, 1, v0
	s_waitcnt lgkmcnt(0)
	ds_bpermute_b32 v3, v4, v3
	s_and_saveexec_b64 s[10:11], vcc
	s_cbranch_execz .LBB2_196
; %bb.195:
	v_mov_b32_e32 v4, s4
	v_mov_b32_e32 v5, s5
	flat_load_dword v6, v[4:5] glc
	s_waitcnt vmcnt(0) lgkmcnt(0)
	v_add_u32_e32 v3, v6, v3
	flat_store_dword v[4:5], v3
	s_waitcnt vmcnt(0)
.LBB2_196:
	s_or_b64 exec, exec, s[10:11]
	s_waitcnt lgkmcnt(0)
	v_mov_b32_e32 v3, s4
	v_mov_b32_e32 v4, s5
	flat_load_dword v3, v[3:4] glc
	s_waitcnt vmcnt(0)
	v_add_u32_e32 v4, -4, v1
	v_cmp_lt_i32_e32 vcc, v4, v2
	v_cndmask_b32_e32 v1, v4, v1, vcc
	v_lshlrev_b32_e32 v1, 2, v1
	v_cmp_lt_u32_e32 vcc, 3, v0
	s_waitcnt lgkmcnt(0)
	ds_bpermute_b32 v1, v1, v3
	s_and_saveexec_b64 s[10:11], vcc
	s_cbranch_execz .LBB2_198
; %bb.197:
	v_mov_b32_e32 v2, s4
	v_mov_b32_e32 v3, s5
	flat_load_dword v4, v[2:3] glc
	s_waitcnt vmcnt(0) lgkmcnt(0)
	v_add_u32_e32 v1, v4, v1
	flat_store_dword v[2:3], v1
	s_waitcnt vmcnt(0)
.LBB2_198:
	s_or_b64 exec, exec, s[10:11]
	s_waitcnt lgkmcnt(0)
	v_mov_b32_e32 v1, s4
	v_mov_b32_e32 v2, s5
	flat_load_dword v2, v[1:2] glc
	s_waitcnt vmcnt(0)
	v_mov_b32_e32 v30, 0
	v_lshlrev_b64 v[3:4], 2, v[29:30]
	v_mov_b32_e32 v1, s7
	v_add_co_u32_e32 v3, vcc, s6, v3
	v_addc_co_u32_e32 v4, vcc, v1, v4, vcc
	s_waitcnt lgkmcnt(0)
	global_store_dword v[3:4], v2, off
	s_cbranch_execz .LBB2_201
	s_branch .LBB2_202
.LBB2_199:
                                        ; implicit-def: $vgpr2
	s_branch .LBB2_203
.LBB2_200:
                                        ; implicit-def: $vgpr2
.LBB2_201:
	v_mbcnt_lo_u32_b32 v1, -1, 0
	v_mbcnt_hi_u32_b32 v1, -1, v1
	v_and_b32_e32 v2, 0x78, v1
	v_add_u32_e32 v2, 8, v2
	v_xor_b32_e32 v3, 4, v1
	v_cmp_lt_i32_e32 vcc, v3, v2
	v_cndmask_b32_e32 v3, v1, v3, vcc
	v_lshlrev_b32_e32 v3, 2, v3
	ds_bpermute_b32 v3, v3, v0
	v_xor_b32_e32 v4, 2, v1
	v_cmp_lt_i32_e32 vcc, v4, v2
	v_cndmask_b32_e32 v4, v1, v4, vcc
	v_lshlrev_b32_e32 v4, 2, v4
	s_waitcnt lgkmcnt(0)
	v_add_u32_e32 v3, v3, v0
	ds_bpermute_b32 v4, v4, v3
	v_xor_b32_e32 v5, 1, v1
	v_cmp_lt_i32_e32 vcc, v5, v2
	v_cndmask_b32_e32 v1, v1, v5, vcc
	v_lshlrev_b32_e32 v1, 2, v1
	s_waitcnt lgkmcnt(0)
	v_add_u32_e32 v3, v4, v3
	ds_bpermute_b32 v1, v1, v3
	v_cmp_eq_u32_e32 vcc, 0, v0
	s_waitcnt lgkmcnt(0)
	v_add_u32_e32 v1, v1, v3
	v_cndmask_b32_e32 v2, -1, v1, vcc
.LBB2_202:
	s_cbranch_execnz .LBB2_207
.LBB2_203:
	s_cmp_lg_u32 s12, 0
                                        ; implicit-def: $vgpr2
	s_cbranch_scc1 .LBB2_207
; %bb.204:
	s_mov_b64 s[4:5], src_private_base
	s_mov_b32 s4, 4
	v_mov_b32_e32 v3, s4
	v_mov_b32_e32 v4, s5
	flat_store_dword v[3:4], v0
	s_waitcnt vmcnt(0)
	flat_load_dword v1, v[3:4] glc
	s_waitcnt vmcnt(0)
	flat_load_dword v2, v[3:4] glc
	s_waitcnt vmcnt(0)
	v_mbcnt_lo_u32_b32 v5, -1, 0
	v_mbcnt_hi_u32_b32 v5, -1, v5
	v_lshl_or_b32 v6, v5, 2, 16
	s_waitcnt lgkmcnt(0)
	ds_bpermute_b32 v1, v6, v1
	v_and_b32_e32 v6, 7, v5
	v_cmp_gt_u32_e32 vcc, 6, v6
	v_cndmask_b32_e64 v7, 0, 2, vcc
	v_add_lshl_u32 v7, v7, v5, 2
	s_waitcnt lgkmcnt(0)
	v_add_u32_e32 v1, v2, v1
	flat_store_dword v[3:4], v1
	s_waitcnt vmcnt(0)
	flat_load_dword v1, v[3:4] glc
	s_waitcnt vmcnt(0)
	flat_load_dword v2, v[3:4] glc
	s_waitcnt vmcnt(0)
	v_cmp_ne_u32_e32 vcc, 7, v6
	s_waitcnt lgkmcnt(0)
	ds_bpermute_b32 v1, v7, v1
	s_waitcnt lgkmcnt(0)
	v_add_u32_e32 v1, v2, v1
	flat_store_dword v[3:4], v1
	s_waitcnt vmcnt(0)
	flat_load_dword v1, v[3:4] glc
	s_waitcnt vmcnt(0)
	flat_load_dword v7, v[3:4] glc
	s_waitcnt vmcnt(0)
	v_addc_co_u32_e32 v2, vcc, 0, v5, vcc
	v_lshlrev_b32_e32 v2, 2, v2
	v_cmp_eq_u32_e32 vcc, 0, v0
	s_waitcnt lgkmcnt(0)
	ds_bpermute_b32 v1, v2, v1
	v_mov_b32_e32 v2, -1
	s_waitcnt lgkmcnt(0)
	v_add_u32_e32 v1, v7, v1
	flat_store_dword v[3:4], v1
	s_waitcnt vmcnt(0)
	s_and_saveexec_b64 s[10:11], vcc
	s_cbranch_execz .LBB2_206
; %bb.205:
	v_mov_b32_e32 v1, s4
	v_mov_b32_e32 v2, s5
	flat_load_dword v2, v[1:2] glc
	s_waitcnt vmcnt(0)
.LBB2_206:
	s_or_b64 exec, exec, s[10:11]
.LBB2_207:
	s_cmp_lg_u32 s12, 2
	v_cmp_eq_u32_e32 vcc, 0, v0
	s_cselect_b64 s[4:5], -1, 0
	s_and_b64 s[4:5], s[4:5], vcc
	s_and_saveexec_b64 s[10:11], s[4:5]
	s_cbranch_execz .LBB2_397
; %bb.208:
	s_load_dwordx2 s[8:9], s[8:9], 0x50
	v_mbcnt_lo_u32_b32 v0, -1, 0
	v_mbcnt_hi_u32_b32 v33, -1, v0
	v_readfirstlane_b32 s4, v33
	v_mov_b32_e32 v0, 0
	v_mov_b32_e32 v1, 0
	v_cmp_eq_u32_e64 s[4:5], s4, v33
	s_and_saveexec_b64 s[10:11], s[4:5]
	s_cbranch_execz .LBB2_214
; %bb.209:
	v_mov_b32_e32 v3, 0
	s_waitcnt lgkmcnt(0)
	global_load_dwordx2 v[6:7], v3, s[8:9] offset:24 glc
	s_waitcnt vmcnt(0)
	buffer_wbinvl1_vol
	global_load_dwordx2 v[0:1], v3, s[8:9] offset:40
	global_load_dwordx2 v[4:5], v3, s[8:9]
	s_waitcnt vmcnt(1)
	v_and_b32_e32 v0, v0, v6
	v_and_b32_e32 v1, v1, v7
	v_mul_lo_u32 v1, v1, 24
	v_mul_hi_u32 v8, v0, 24
	v_mul_lo_u32 v0, v0, 24
	v_add_u32_e32 v1, v8, v1
	s_waitcnt vmcnt(0)
	v_add_co_u32_e32 v0, vcc, v4, v0
	v_addc_co_u32_e32 v1, vcc, v5, v1, vcc
	global_load_dwordx2 v[4:5], v[0:1], off glc
	s_waitcnt vmcnt(0)
	global_atomic_cmpswap_x2 v[0:1], v3, v[4:7], s[8:9] offset:24 glc
	s_waitcnt vmcnt(0)
	buffer_wbinvl1_vol
	v_cmp_ne_u64_e32 vcc, v[0:1], v[6:7]
	s_and_saveexec_b64 s[12:13], vcc
	s_cbranch_execz .LBB2_213
; %bb.210:
	s_mov_b64 s[14:15], 0
.LBB2_211:                              ; =>This Inner Loop Header: Depth=1
	s_sleep 1
	global_load_dwordx2 v[4:5], v3, s[8:9] offset:40
	global_load_dwordx2 v[8:9], v3, s[8:9]
	v_mov_b32_e32 v7, v1
	v_mov_b32_e32 v6, v0
	s_waitcnt vmcnt(1)
	v_and_b32_e32 v0, v4, v6
	s_waitcnt vmcnt(0)
	v_mad_u64_u32 v[0:1], s[16:17], v0, 24, v[8:9]
	v_and_b32_e32 v4, v5, v7
	v_mad_u64_u32 v[4:5], s[16:17], v4, 24, v[1:2]
	v_mov_b32_e32 v1, v4
	global_load_dwordx2 v[4:5], v[0:1], off glc
	s_waitcnt vmcnt(0)
	global_atomic_cmpswap_x2 v[0:1], v3, v[4:7], s[8:9] offset:24 glc
	s_waitcnt vmcnt(0)
	buffer_wbinvl1_vol
	v_cmp_eq_u64_e32 vcc, v[0:1], v[6:7]
	s_or_b64 s[14:15], vcc, s[14:15]
	s_andn2_b64 exec, exec, s[14:15]
	s_cbranch_execnz .LBB2_211
; %bb.212:
	s_or_b64 exec, exec, s[14:15]
.LBB2_213:
	s_or_b64 exec, exec, s[12:13]
.LBB2_214:
	s_or_b64 exec, exec, s[10:11]
	v_mov_b32_e32 v7, 0
	s_waitcnt lgkmcnt(0)
	global_load_dwordx2 v[8:9], v7, s[8:9] offset:40
	global_load_dwordx4 v[3:6], v7, s[8:9]
	v_readfirstlane_b32 s11, v1
	v_readfirstlane_b32 s10, v0
	s_mov_b64 s[12:13], exec
	s_waitcnt vmcnt(1)
	v_readfirstlane_b32 s14, v8
	v_readfirstlane_b32 s15, v9
	s_and_b64 s[14:15], s[14:15], s[10:11]
	s_mul_i32 s16, s15, 24
	s_mul_hi_u32 s17, s14, 24
	s_mul_i32 s18, s14, 24
	s_add_i32 s16, s17, s16
	v_mov_b32_e32 v1, s16
	s_waitcnt vmcnt(0)
	v_add_co_u32_e32 v0, vcc, s18, v3
	v_addc_co_u32_e32 v1, vcc, v4, v1, vcc
	s_and_saveexec_b64 s[16:17], s[4:5]
	s_cbranch_execz .LBB2_216
; %bb.215:
	v_mov_b32_e32 v8, s12
	v_mov_b32_e32 v9, s13
	;; [unrolled: 1-line block ×4, first 2 shown]
	global_store_dwordx4 v[0:1], v[8:11], off offset:8
.LBB2_216:
	s_or_b64 exec, exec, s[16:17]
	s_lshl_b64 s[12:13], s[14:15], 12
	v_mov_b32_e32 v8, s13
	v_add_co_u32_e32 v5, vcc, s12, v5
	v_addc_co_u32_e32 v12, vcc, v6, v8, vcc
	v_lshlrev_b32_e32 v32, 6, v33
	s_mov_b32 s12, 0
	v_mov_b32_e32 v6, 33
	v_mov_b32_e32 v8, v7
	;; [unrolled: 1-line block ×3, first 2 shown]
	v_readfirstlane_b32 s16, v5
	v_readfirstlane_b32 s17, v12
	v_add_co_u32_e32 v10, vcc, v5, v32
	s_mov_b32 s13, s12
	s_mov_b32 s14, s12
	;; [unrolled: 1-line block ×3, first 2 shown]
	s_nop 0
	global_store_dwordx4 v32, v[6:9], s[16:17]
	v_mov_b32_e32 v5, s12
	v_addc_co_u32_e32 v11, vcc, 0, v12, vcc
	v_mov_b32_e32 v6, s13
	v_mov_b32_e32 v7, s14
	;; [unrolled: 1-line block ×3, first 2 shown]
	global_store_dwordx4 v32, v[5:8], s[16:17] offset:16
	global_store_dwordx4 v32, v[5:8], s[16:17] offset:32
	;; [unrolled: 1-line block ×3, first 2 shown]
	s_and_saveexec_b64 s[12:13], s[4:5]
	s_cbranch_execz .LBB2_224
; %bb.217:
	v_mov_b32_e32 v9, 0
	global_load_dwordx2 v[14:15], v9, s[8:9] offset:32 glc
	global_load_dwordx2 v[5:6], v9, s[8:9] offset:40
	v_mov_b32_e32 v12, s10
	v_mov_b32_e32 v13, s11
	s_waitcnt vmcnt(0)
	v_and_b32_e32 v5, s10, v5
	v_and_b32_e32 v6, s11, v6
	v_mul_lo_u32 v6, v6, 24
	v_mul_hi_u32 v7, v5, 24
	v_mul_lo_u32 v5, v5, 24
	v_add_u32_e32 v6, v7, v6
	v_add_co_u32_e32 v7, vcc, v3, v5
	v_addc_co_u32_e32 v8, vcc, v4, v6, vcc
	global_store_dwordx2 v[7:8], v[14:15], off
	s_waitcnt vmcnt(0)
	global_atomic_cmpswap_x2 v[5:6], v9, v[12:15], s[8:9] offset:32 glc
	s_waitcnt vmcnt(0)
	v_cmp_ne_u64_e32 vcc, v[5:6], v[14:15]
	s_and_saveexec_b64 s[14:15], vcc
	s_cbranch_execz .LBB2_220
; %bb.218:
	s_mov_b64 s[16:17], 0
.LBB2_219:                              ; =>This Inner Loop Header: Depth=1
	s_sleep 1
	global_store_dwordx2 v[7:8], v[5:6], off
	v_mov_b32_e32 v3, s10
	v_mov_b32_e32 v4, s11
	s_waitcnt vmcnt(0)
	global_atomic_cmpswap_x2 v[3:4], v9, v[3:6], s[8:9] offset:32 glc
	s_waitcnt vmcnt(0)
	v_cmp_eq_u64_e32 vcc, v[3:4], v[5:6]
	v_mov_b32_e32 v6, v4
	s_or_b64 s[16:17], vcc, s[16:17]
	v_mov_b32_e32 v5, v3
	s_andn2_b64 exec, exec, s[16:17]
	s_cbranch_execnz .LBB2_219
.LBB2_220:
	s_or_b64 exec, exec, s[14:15]
	v_mov_b32_e32 v6, 0
	global_load_dwordx2 v[3:4], v6, s[8:9] offset:16
	s_mov_b64 s[14:15], exec
	v_mbcnt_lo_u32_b32 v5, s14, 0
	v_mbcnt_hi_u32_b32 v5, s15, v5
	v_cmp_eq_u32_e32 vcc, 0, v5
	s_and_saveexec_b64 s[16:17], vcc
	s_cbranch_execz .LBB2_222
; %bb.221:
	s_bcnt1_i32_b64 s14, s[14:15]
	v_mov_b32_e32 v5, s14
	s_waitcnt vmcnt(0)
	global_atomic_add_x2 v[3:4], v[5:6], off offset:8
.LBB2_222:
	s_or_b64 exec, exec, s[16:17]
	s_waitcnt vmcnt(0)
	global_load_dwordx2 v[5:6], v[3:4], off offset:16
	s_waitcnt vmcnt(0)
	v_cmp_eq_u64_e32 vcc, 0, v[5:6]
	s_cbranch_vccnz .LBB2_224
; %bb.223:
	global_load_dword v3, v[3:4], off offset:24
	v_mov_b32_e32 v4, 0
	s_waitcnt vmcnt(0)
	v_readfirstlane_b32 s14, v3
	s_and_b32 m0, s14, 0xffffff
	global_store_dwordx2 v[5:6], v[3:4], off
	s_sendmsg sendmsg(MSG_INTERRUPT)
.LBB2_224:
	s_or_b64 exec, exec, s[12:13]
	s_branch .LBB2_228
.LBB2_225:                              ;   in Loop: Header=BB2_228 Depth=1
	s_or_b64 exec, exec, s[12:13]
	v_readfirstlane_b32 s12, v3
	s_cmp_eq_u32 s12, 0
	s_cbranch_scc1 .LBB2_227
; %bb.226:                              ;   in Loop: Header=BB2_228 Depth=1
	s_sleep 1
	s_cbranch_execnz .LBB2_228
	s_branch .LBB2_230
.LBB2_227:
	s_branch .LBB2_230
.LBB2_228:                              ; =>This Inner Loop Header: Depth=1
	v_mov_b32_e32 v3, 1
	s_and_saveexec_b64 s[12:13], s[4:5]
	s_cbranch_execz .LBB2_225
; %bb.229:                              ;   in Loop: Header=BB2_228 Depth=1
	global_load_dword v3, v[0:1], off offset:20 glc
	s_waitcnt vmcnt(0)
	buffer_wbinvl1_vol
	v_and_b32_e32 v3, 1, v3
	s_branch .LBB2_225
.LBB2_230:
	global_load_dwordx2 v[3:4], v[10:11], off
	s_and_saveexec_b64 s[12:13], s[4:5]
	s_cbranch_execz .LBB2_233
; %bb.231:
	v_mov_b32_e32 v9, 0
	global_load_dwordx2 v[0:1], v9, s[8:9] offset:40
	global_load_dwordx2 v[12:13], v9, s[8:9] offset:24 glc
	global_load_dwordx2 v[5:6], v9, s[8:9]
	s_waitcnt vmcnt(2)
	v_readfirstlane_b32 s14, v0
	v_readfirstlane_b32 s15, v1
	s_add_u32 s16, s14, 1
	s_addc_u32 s17, s15, 0
	s_add_u32 s4, s16, s10
	s_addc_u32 s5, s17, s11
	s_cmp_eq_u64 s[4:5], 0
	s_cselect_b32 s5, s17, s5
	s_cselect_b32 s4, s16, s4
	s_and_b64 s[10:11], s[4:5], s[14:15]
	s_mul_i32 s11, s11, 24
	s_mul_hi_u32 s14, s10, 24
	s_mul_i32 s10, s10, 24
	s_add_i32 s11, s14, s11
	v_mov_b32_e32 v1, s11
	s_waitcnt vmcnt(0)
	v_add_co_u32_e32 v0, vcc, s10, v5
	v_addc_co_u32_e32 v1, vcc, v6, v1, vcc
	v_mov_b32_e32 v10, s4
	global_store_dwordx2 v[0:1], v[12:13], off
	v_mov_b32_e32 v11, s5
	s_waitcnt vmcnt(0)
	global_atomic_cmpswap_x2 v[7:8], v9, v[10:13], s[8:9] offset:24 glc
	s_mov_b64 s[10:11], 0
	s_waitcnt vmcnt(0)
	v_cmp_ne_u64_e32 vcc, v[7:8], v[12:13]
	s_and_b64 exec, exec, vcc
	s_cbranch_execz .LBB2_233
.LBB2_232:                              ; =>This Inner Loop Header: Depth=1
	s_sleep 1
	global_store_dwordx2 v[0:1], v[7:8], off
	v_mov_b32_e32 v5, s4
	v_mov_b32_e32 v6, s5
	s_waitcnt vmcnt(0)
	global_atomic_cmpswap_x2 v[5:6], v9, v[5:8], s[8:9] offset:24 glc
	s_waitcnt vmcnt(0)
	v_cmp_eq_u64_e32 vcc, v[5:6], v[7:8]
	v_mov_b32_e32 v8, v6
	s_or_b64 s[10:11], vcc, s[10:11]
	v_mov_b32_e32 v7, v5
	s_andn2_b64 exec, exec, s[10:11]
	s_cbranch_execnz .LBB2_232
.LBB2_233:
	s_or_b64 exec, exec, s[12:13]
	s_getpc_b64 s[10:11]
	s_add_u32 s10, s10, .str.1@rel32@lo+4
	s_addc_u32 s11, s11, .str.1@rel32@hi+12
	s_cmp_lg_u64 s[10:11], 0
	s_cbranch_scc0 .LBB2_319
; %bb.234:
	s_waitcnt vmcnt(0)
	v_and_b32_e32 v34, 2, v3
	v_mov_b32_e32 v1, 0
	v_and_b32_e32 v5, -3, v3
	v_mov_b32_e32 v6, v4
	s_mov_b64 s[12:13], 58
	v_mov_b32_e32 v11, 2
	v_mov_b32_e32 v12, 1
	s_branch .LBB2_236
.LBB2_235:                              ;   in Loop: Header=BB2_236 Depth=1
	s_or_b64 exec, exec, s[18:19]
	s_sub_u32 s12, s12, s14
	s_subb_u32 s13, s13, s15
	s_add_u32 s10, s10, s14
	s_addc_u32 s11, s11, s15
	s_cmp_lg_u64 s[12:13], 0
	s_cbranch_scc0 .LBB2_318
.LBB2_236:                              ; =>This Loop Header: Depth=1
                                        ;     Child Loop BB2_239 Depth 2
                                        ;     Child Loop BB2_247 Depth 2
	;; [unrolled: 1-line block ×11, first 2 shown]
	v_cmp_lt_u64_e64 s[4:5], s[12:13], 56
	v_cmp_gt_u64_e64 s[16:17], s[12:13], 7
	s_and_b64 s[4:5], s[4:5], exec
	s_cselect_b32 s15, s13, 0
	s_cselect_b32 s14, s12, 56
	s_add_u32 s4, s10, 8
	s_addc_u32 s5, s11, 0
	s_and_b64 vcc, exec, s[16:17]
	s_cbranch_vccnz .LBB2_240
; %bb.237:                              ;   in Loop: Header=BB2_236 Depth=1
	s_cmp_eq_u64 s[12:13], 0
	s_cbranch_scc1 .LBB2_241
; %bb.238:                              ;   in Loop: Header=BB2_236 Depth=1
	v_mov_b32_e32 v7, 0
	s_lshl_b64 s[4:5], s[14:15], 3
	s_mov_b64 s[16:17], 0
	v_mov_b32_e32 v8, 0
	s_mov_b64 s[18:19], s[10:11]
.LBB2_239:                              ;   Parent Loop BB2_236 Depth=1
                                        ; =>  This Inner Loop Header: Depth=2
	global_load_ubyte v0, v1, s[18:19]
	s_waitcnt vmcnt(0)
	v_and_b32_e32 v0, 0xffff, v0
	v_lshlrev_b64 v[9:10], s16, v[0:1]
	s_add_u32 s16, s16, 8
	s_addc_u32 s17, s17, 0
	s_add_u32 s18, s18, 1
	s_addc_u32 s19, s19, 0
	v_or_b32_e32 v7, v9, v7
	s_cmp_lg_u32 s4, s16
	v_or_b32_e32 v8, v10, v8
	s_cbranch_scc1 .LBB2_239
	s_branch .LBB2_242
.LBB2_240:                              ;   in Loop: Header=BB2_236 Depth=1
	s_mov_b32 s20, 0
	s_branch .LBB2_243
.LBB2_241:                              ;   in Loop: Header=BB2_236 Depth=1
	v_mov_b32_e32 v7, 0
	v_mov_b32_e32 v8, 0
.LBB2_242:                              ;   in Loop: Header=BB2_236 Depth=1
	s_mov_b64 s[4:5], s[10:11]
	s_mov_b32 s20, 0
	s_cbranch_execnz .LBB2_244
.LBB2_243:                              ;   in Loop: Header=BB2_236 Depth=1
	global_load_dwordx2 v[7:8], v1, s[10:11]
	s_add_i32 s20, s14, -8
.LBB2_244:                              ;   in Loop: Header=BB2_236 Depth=1
	s_add_u32 s16, s4, 8
	s_addc_u32 s17, s5, 0
	s_cmp_gt_u32 s20, 7
	s_cbranch_scc1 .LBB2_248
; %bb.245:                              ;   in Loop: Header=BB2_236 Depth=1
	s_cmp_eq_u32 s20, 0
	s_cbranch_scc1 .LBB2_249
; %bb.246:                              ;   in Loop: Header=BB2_236 Depth=1
	v_mov_b32_e32 v13, 0
	s_mov_b64 s[16:17], 0
	v_mov_b32_e32 v14, 0
	s_mov_b64 s[18:19], 0
.LBB2_247:                              ;   Parent Loop BB2_236 Depth=1
                                        ; =>  This Inner Loop Header: Depth=2
	s_add_u32 s22, s4, s18
	s_addc_u32 s23, s5, s19
	global_load_ubyte v0, v1, s[22:23]
	s_add_u32 s18, s18, 1
	s_addc_u32 s19, s19, 0
	s_waitcnt vmcnt(0)
	v_and_b32_e32 v0, 0xffff, v0
	v_lshlrev_b64 v[9:10], s16, v[0:1]
	s_add_u32 s16, s16, 8
	s_addc_u32 s17, s17, 0
	v_or_b32_e32 v13, v9, v13
	s_cmp_lg_u32 s20, s18
	v_or_b32_e32 v14, v10, v14
	s_cbranch_scc1 .LBB2_247
	s_branch .LBB2_250
.LBB2_248:                              ;   in Loop: Header=BB2_236 Depth=1
                                        ; implicit-def: $vgpr13_vgpr14
	s_mov_b32 s21, 0
	s_branch .LBB2_251
.LBB2_249:                              ;   in Loop: Header=BB2_236 Depth=1
	v_mov_b32_e32 v13, 0
	v_mov_b32_e32 v14, 0
.LBB2_250:                              ;   in Loop: Header=BB2_236 Depth=1
	s_mov_b64 s[16:17], s[4:5]
	s_mov_b32 s21, 0
	s_cbranch_execnz .LBB2_252
.LBB2_251:                              ;   in Loop: Header=BB2_236 Depth=1
	global_load_dwordx2 v[13:14], v1, s[4:5]
	s_add_i32 s21, s20, -8
.LBB2_252:                              ;   in Loop: Header=BB2_236 Depth=1
	s_add_u32 s4, s16, 8
	s_addc_u32 s5, s17, 0
	s_cmp_gt_u32 s21, 7
	s_cbranch_scc1 .LBB2_256
; %bb.253:                              ;   in Loop: Header=BB2_236 Depth=1
	s_cmp_eq_u32 s21, 0
	s_cbranch_scc1 .LBB2_257
; %bb.254:                              ;   in Loop: Header=BB2_236 Depth=1
	v_mov_b32_e32 v15, 0
	s_mov_b64 s[4:5], 0
	v_mov_b32_e32 v16, 0
	s_mov_b64 s[18:19], 0
.LBB2_255:                              ;   Parent Loop BB2_236 Depth=1
                                        ; =>  This Inner Loop Header: Depth=2
	s_add_u32 s22, s16, s18
	s_addc_u32 s23, s17, s19
	global_load_ubyte v0, v1, s[22:23]
	s_add_u32 s18, s18, 1
	s_addc_u32 s19, s19, 0
	s_waitcnt vmcnt(0)
	v_and_b32_e32 v0, 0xffff, v0
	v_lshlrev_b64 v[9:10], s4, v[0:1]
	s_add_u32 s4, s4, 8
	s_addc_u32 s5, s5, 0
	v_or_b32_e32 v15, v9, v15
	s_cmp_lg_u32 s21, s18
	v_or_b32_e32 v16, v10, v16
	s_cbranch_scc1 .LBB2_255
	s_branch .LBB2_258
.LBB2_256:                              ;   in Loop: Header=BB2_236 Depth=1
	s_mov_b32 s20, 0
	s_branch .LBB2_259
.LBB2_257:                              ;   in Loop: Header=BB2_236 Depth=1
	v_mov_b32_e32 v15, 0
	v_mov_b32_e32 v16, 0
.LBB2_258:                              ;   in Loop: Header=BB2_236 Depth=1
	s_mov_b64 s[4:5], s[16:17]
	s_mov_b32 s20, 0
	s_cbranch_execnz .LBB2_260
.LBB2_259:                              ;   in Loop: Header=BB2_236 Depth=1
	global_load_dwordx2 v[15:16], v1, s[16:17]
	s_add_i32 s20, s21, -8
.LBB2_260:                              ;   in Loop: Header=BB2_236 Depth=1
	s_add_u32 s16, s4, 8
	s_addc_u32 s17, s5, 0
	s_cmp_gt_u32 s20, 7
	s_cbranch_scc1 .LBB2_264
; %bb.261:                              ;   in Loop: Header=BB2_236 Depth=1
	s_cmp_eq_u32 s20, 0
	s_cbranch_scc1 .LBB2_265
; %bb.262:                              ;   in Loop: Header=BB2_236 Depth=1
	v_mov_b32_e32 v17, 0
	s_mov_b64 s[16:17], 0
	v_mov_b32_e32 v18, 0
	s_mov_b64 s[18:19], 0
.LBB2_263:                              ;   Parent Loop BB2_236 Depth=1
                                        ; =>  This Inner Loop Header: Depth=2
	s_add_u32 s22, s4, s18
	s_addc_u32 s23, s5, s19
	global_load_ubyte v0, v1, s[22:23]
	s_add_u32 s18, s18, 1
	s_addc_u32 s19, s19, 0
	s_waitcnt vmcnt(0)
	v_and_b32_e32 v0, 0xffff, v0
	v_lshlrev_b64 v[9:10], s16, v[0:1]
	s_add_u32 s16, s16, 8
	s_addc_u32 s17, s17, 0
	v_or_b32_e32 v17, v9, v17
	s_cmp_lg_u32 s20, s18
	v_or_b32_e32 v18, v10, v18
	s_cbranch_scc1 .LBB2_263
	s_branch .LBB2_266
.LBB2_264:                              ;   in Loop: Header=BB2_236 Depth=1
                                        ; implicit-def: $vgpr17_vgpr18
	s_mov_b32 s21, 0
	s_branch .LBB2_267
.LBB2_265:                              ;   in Loop: Header=BB2_236 Depth=1
	v_mov_b32_e32 v17, 0
	v_mov_b32_e32 v18, 0
.LBB2_266:                              ;   in Loop: Header=BB2_236 Depth=1
	s_mov_b64 s[16:17], s[4:5]
	s_mov_b32 s21, 0
	s_cbranch_execnz .LBB2_268
.LBB2_267:                              ;   in Loop: Header=BB2_236 Depth=1
	global_load_dwordx2 v[17:18], v1, s[4:5]
	s_add_i32 s21, s20, -8
.LBB2_268:                              ;   in Loop: Header=BB2_236 Depth=1
	s_add_u32 s4, s16, 8
	s_addc_u32 s5, s17, 0
	s_cmp_gt_u32 s21, 7
	s_cbranch_scc1 .LBB2_272
; %bb.269:                              ;   in Loop: Header=BB2_236 Depth=1
	s_cmp_eq_u32 s21, 0
	s_cbranch_scc1 .LBB2_273
; %bb.270:                              ;   in Loop: Header=BB2_236 Depth=1
	v_mov_b32_e32 v19, 0
	s_mov_b64 s[4:5], 0
	v_mov_b32_e32 v20, 0
	s_mov_b64 s[18:19], 0
.LBB2_271:                              ;   Parent Loop BB2_236 Depth=1
                                        ; =>  This Inner Loop Header: Depth=2
	s_add_u32 s22, s16, s18
	s_addc_u32 s23, s17, s19
	global_load_ubyte v0, v1, s[22:23]
	s_add_u32 s18, s18, 1
	s_addc_u32 s19, s19, 0
	s_waitcnt vmcnt(0)
	v_and_b32_e32 v0, 0xffff, v0
	v_lshlrev_b64 v[9:10], s4, v[0:1]
	s_add_u32 s4, s4, 8
	s_addc_u32 s5, s5, 0
	v_or_b32_e32 v19, v9, v19
	s_cmp_lg_u32 s21, s18
	v_or_b32_e32 v20, v10, v20
	s_cbranch_scc1 .LBB2_271
	s_branch .LBB2_274
.LBB2_272:                              ;   in Loop: Header=BB2_236 Depth=1
	s_mov_b32 s20, 0
	s_branch .LBB2_275
.LBB2_273:                              ;   in Loop: Header=BB2_236 Depth=1
	v_mov_b32_e32 v19, 0
	v_mov_b32_e32 v20, 0
.LBB2_274:                              ;   in Loop: Header=BB2_236 Depth=1
	s_mov_b64 s[4:5], s[16:17]
	s_mov_b32 s20, 0
	s_cbranch_execnz .LBB2_276
.LBB2_275:                              ;   in Loop: Header=BB2_236 Depth=1
	global_load_dwordx2 v[19:20], v1, s[16:17]
	s_add_i32 s20, s21, -8
.LBB2_276:                              ;   in Loop: Header=BB2_236 Depth=1
	s_add_u32 s16, s4, 8
	s_addc_u32 s17, s5, 0
	s_cmp_gt_u32 s20, 7
	s_cbranch_scc1 .LBB2_280
; %bb.277:                              ;   in Loop: Header=BB2_236 Depth=1
	s_cmp_eq_u32 s20, 0
	s_cbranch_scc1 .LBB2_281
; %bb.278:                              ;   in Loop: Header=BB2_236 Depth=1
	v_mov_b32_e32 v21, 0
	s_mov_b64 s[16:17], 0
	v_mov_b32_e32 v22, 0
	s_mov_b64 s[18:19], 0
.LBB2_279:                              ;   Parent Loop BB2_236 Depth=1
                                        ; =>  This Inner Loop Header: Depth=2
	s_add_u32 s22, s4, s18
	s_addc_u32 s23, s5, s19
	global_load_ubyte v0, v1, s[22:23]
	s_add_u32 s18, s18, 1
	s_addc_u32 s19, s19, 0
	s_waitcnt vmcnt(0)
	v_and_b32_e32 v0, 0xffff, v0
	v_lshlrev_b64 v[9:10], s16, v[0:1]
	s_add_u32 s16, s16, 8
	s_addc_u32 s17, s17, 0
	v_or_b32_e32 v21, v9, v21
	s_cmp_lg_u32 s20, s18
	v_or_b32_e32 v22, v10, v22
	s_cbranch_scc1 .LBB2_279
	s_branch .LBB2_282
.LBB2_280:                              ;   in Loop: Header=BB2_236 Depth=1
                                        ; implicit-def: $vgpr21_vgpr22
	s_mov_b32 s21, 0
	s_branch .LBB2_283
.LBB2_281:                              ;   in Loop: Header=BB2_236 Depth=1
	v_mov_b32_e32 v21, 0
	v_mov_b32_e32 v22, 0
.LBB2_282:                              ;   in Loop: Header=BB2_236 Depth=1
	s_mov_b64 s[16:17], s[4:5]
	s_mov_b32 s21, 0
	s_cbranch_execnz .LBB2_284
.LBB2_283:                              ;   in Loop: Header=BB2_236 Depth=1
	global_load_dwordx2 v[21:22], v1, s[4:5]
	s_add_i32 s21, s20, -8
.LBB2_284:                              ;   in Loop: Header=BB2_236 Depth=1
	s_cmp_gt_u32 s21, 7
	s_cbranch_scc1 .LBB2_288
; %bb.285:                              ;   in Loop: Header=BB2_236 Depth=1
	s_cmp_eq_u32 s21, 0
	s_cbranch_scc1 .LBB2_289
; %bb.286:                              ;   in Loop: Header=BB2_236 Depth=1
	v_mov_b32_e32 v23, 0
	s_mov_b64 s[4:5], 0
	v_mov_b32_e32 v24, 0
	s_mov_b64 s[18:19], s[16:17]
.LBB2_287:                              ;   Parent Loop BB2_236 Depth=1
                                        ; =>  This Inner Loop Header: Depth=2
	global_load_ubyte v0, v1, s[18:19]
	s_add_i32 s21, s21, -1
	s_waitcnt vmcnt(0)
	v_and_b32_e32 v0, 0xffff, v0
	v_lshlrev_b64 v[9:10], s4, v[0:1]
	s_add_u32 s4, s4, 8
	s_addc_u32 s5, s5, 0
	s_add_u32 s18, s18, 1
	s_addc_u32 s19, s19, 0
	v_or_b32_e32 v23, v9, v23
	s_cmp_lg_u32 s21, 0
	v_or_b32_e32 v24, v10, v24
	s_cbranch_scc1 .LBB2_287
	s_branch .LBB2_290
.LBB2_288:                              ;   in Loop: Header=BB2_236 Depth=1
	s_branch .LBB2_291
.LBB2_289:                              ;   in Loop: Header=BB2_236 Depth=1
	v_mov_b32_e32 v23, 0
	v_mov_b32_e32 v24, 0
.LBB2_290:                              ;   in Loop: Header=BB2_236 Depth=1
	s_cbranch_execnz .LBB2_292
.LBB2_291:                              ;   in Loop: Header=BB2_236 Depth=1
	global_load_dwordx2 v[23:24], v1, s[16:17]
.LBB2_292:                              ;   in Loop: Header=BB2_236 Depth=1
	v_readfirstlane_b32 s4, v33
	v_mov_b32_e32 v9, 0
	v_mov_b32_e32 v10, 0
	v_cmp_eq_u32_e64 s[4:5], s4, v33
	s_and_saveexec_b64 s[16:17], s[4:5]
	s_cbranch_execz .LBB2_298
; %bb.293:                              ;   in Loop: Header=BB2_236 Depth=1
	global_load_dwordx2 v[27:28], v1, s[8:9] offset:24 glc
	s_waitcnt vmcnt(0)
	buffer_wbinvl1_vol
	global_load_dwordx2 v[9:10], v1, s[8:9] offset:40
	global_load_dwordx2 v[25:26], v1, s[8:9]
	s_waitcnt vmcnt(1)
	v_and_b32_e32 v0, v9, v27
	v_and_b32_e32 v9, v10, v28
	v_mul_lo_u32 v9, v9, 24
	v_mul_hi_u32 v10, v0, 24
	v_mul_lo_u32 v0, v0, 24
	v_add_u32_e32 v10, v10, v9
	s_waitcnt vmcnt(0)
	v_add_co_u32_e32 v9, vcc, v25, v0
	v_addc_co_u32_e32 v10, vcc, v26, v10, vcc
	global_load_dwordx2 v[25:26], v[9:10], off glc
	s_waitcnt vmcnt(0)
	global_atomic_cmpswap_x2 v[9:10], v1, v[25:28], s[8:9] offset:24 glc
	s_waitcnt vmcnt(0)
	buffer_wbinvl1_vol
	v_cmp_ne_u64_e32 vcc, v[9:10], v[27:28]
	s_and_saveexec_b64 s[18:19], vcc
	s_cbranch_execz .LBB2_297
; %bb.294:                              ;   in Loop: Header=BB2_236 Depth=1
	s_mov_b64 s[20:21], 0
.LBB2_295:                              ;   Parent Loop BB2_236 Depth=1
                                        ; =>  This Inner Loop Header: Depth=2
	s_sleep 1
	global_load_dwordx2 v[25:26], v1, s[8:9] offset:40
	global_load_dwordx2 v[30:31], v1, s[8:9]
	v_mov_b32_e32 v28, v10
	v_mov_b32_e32 v27, v9
	s_waitcnt vmcnt(1)
	v_and_b32_e32 v0, v25, v27
	s_waitcnt vmcnt(0)
	v_mad_u64_u32 v[9:10], s[22:23], v0, 24, v[30:31]
	v_and_b32_e32 v25, v26, v28
	v_mov_b32_e32 v0, v10
	v_mad_u64_u32 v[25:26], s[22:23], v25, 24, v[0:1]
	v_mov_b32_e32 v10, v25
	global_load_dwordx2 v[25:26], v[9:10], off glc
	s_waitcnt vmcnt(0)
	global_atomic_cmpswap_x2 v[9:10], v1, v[25:28], s[8:9] offset:24 glc
	s_waitcnt vmcnt(0)
	buffer_wbinvl1_vol
	v_cmp_eq_u64_e32 vcc, v[9:10], v[27:28]
	s_or_b64 s[20:21], vcc, s[20:21]
	s_andn2_b64 exec, exec, s[20:21]
	s_cbranch_execnz .LBB2_295
; %bb.296:                              ;   in Loop: Header=BB2_236 Depth=1
	s_or_b64 exec, exec, s[20:21]
.LBB2_297:                              ;   in Loop: Header=BB2_236 Depth=1
	s_or_b64 exec, exec, s[18:19]
.LBB2_298:                              ;   in Loop: Header=BB2_236 Depth=1
	s_or_b64 exec, exec, s[16:17]
	global_load_dwordx2 v[30:31], v1, s[8:9] offset:40
	global_load_dwordx4 v[25:28], v1, s[8:9]
	v_readfirstlane_b32 s17, v10
	v_readfirstlane_b32 s16, v9
	s_mov_b64 s[18:19], exec
	s_waitcnt vmcnt(1)
	v_readfirstlane_b32 s20, v30
	v_readfirstlane_b32 s21, v31
	s_and_b64 s[20:21], s[20:21], s[16:17]
	s_mul_i32 s22, s21, 24
	s_mul_hi_u32 s23, s20, 24
	s_mul_i32 s24, s20, 24
	s_add_i32 s22, s23, s22
	v_mov_b32_e32 v0, s22
	s_waitcnt vmcnt(0)
	v_add_co_u32_e32 v30, vcc, s24, v25
	v_addc_co_u32_e32 v31, vcc, v26, v0, vcc
	s_and_saveexec_b64 s[22:23], s[4:5]
	s_cbranch_execz .LBB2_300
; %bb.299:                              ;   in Loop: Header=BB2_236 Depth=1
	v_mov_b32_e32 v9, s18
	v_mov_b32_e32 v10, s19
	global_store_dwordx4 v[30:31], v[9:12], off offset:8
.LBB2_300:                              ;   in Loop: Header=BB2_236 Depth=1
	s_or_b64 exec, exec, s[22:23]
	s_lshl_b64 s[18:19], s[20:21], 12
	v_mov_b32_e32 v0, s19
	v_add_co_u32_e32 v27, vcc, s18, v27
	v_addc_co_u32_e32 v28, vcc, v28, v0, vcc
	v_cmp_lt_u64_e64 vcc, s[12:13], 57
	s_lshl_b32 s18, s14, 2
	v_cndmask_b32_e32 v0, 0, v34, vcc
	s_add_i32 s18, s18, 28
	v_and_b32_e32 v5, 0xffffff1f, v5
	s_and_b32 s18, s18, 0x1e0
	v_or_b32_e32 v0, v5, v0
	v_or_b32_e32 v5, s18, v0
	v_readfirstlane_b32 s18, v27
	v_readfirstlane_b32 s19, v28
	s_nop 4
	global_store_dwordx4 v32, v[5:8], s[18:19]
	global_store_dwordx4 v32, v[13:16], s[18:19] offset:16
	global_store_dwordx4 v32, v[17:20], s[18:19] offset:32
	;; [unrolled: 1-line block ×3, first 2 shown]
	s_and_saveexec_b64 s[18:19], s[4:5]
	s_cbranch_execz .LBB2_308
; %bb.301:                              ;   in Loop: Header=BB2_236 Depth=1
	global_load_dwordx2 v[15:16], v1, s[8:9] offset:32 glc
	global_load_dwordx2 v[5:6], v1, s[8:9] offset:40
	v_mov_b32_e32 v13, s16
	v_mov_b32_e32 v14, s17
	s_waitcnt vmcnt(0)
	v_readfirstlane_b32 s20, v5
	v_readfirstlane_b32 s21, v6
	s_and_b64 s[20:21], s[20:21], s[16:17]
	s_mul_i32 s21, s21, 24
	s_mul_hi_u32 s22, s20, 24
	s_mul_i32 s20, s20, 24
	s_add_i32 s21, s22, s21
	v_mov_b32_e32 v0, s21
	v_add_co_u32_e32 v9, vcc, s20, v25
	v_addc_co_u32_e32 v10, vcc, v26, v0, vcc
	global_store_dwordx2 v[9:10], v[15:16], off
	s_waitcnt vmcnt(0)
	global_atomic_cmpswap_x2 v[7:8], v1, v[13:16], s[8:9] offset:32 glc
	s_waitcnt vmcnt(0)
	v_cmp_ne_u64_e32 vcc, v[7:8], v[15:16]
	s_and_saveexec_b64 s[20:21], vcc
	s_cbranch_execz .LBB2_304
; %bb.302:                              ;   in Loop: Header=BB2_236 Depth=1
	s_mov_b64 s[22:23], 0
.LBB2_303:                              ;   Parent Loop BB2_236 Depth=1
                                        ; =>  This Inner Loop Header: Depth=2
	s_sleep 1
	global_store_dwordx2 v[9:10], v[7:8], off
	v_mov_b32_e32 v5, s16
	v_mov_b32_e32 v6, s17
	s_waitcnt vmcnt(0)
	global_atomic_cmpswap_x2 v[5:6], v1, v[5:8], s[8:9] offset:32 glc
	s_waitcnt vmcnt(0)
	v_cmp_eq_u64_e32 vcc, v[5:6], v[7:8]
	v_mov_b32_e32 v8, v6
	s_or_b64 s[22:23], vcc, s[22:23]
	v_mov_b32_e32 v7, v5
	s_andn2_b64 exec, exec, s[22:23]
	s_cbranch_execnz .LBB2_303
.LBB2_304:                              ;   in Loop: Header=BB2_236 Depth=1
	s_or_b64 exec, exec, s[20:21]
	global_load_dwordx2 v[5:6], v1, s[8:9] offset:16
	s_mov_b64 s[22:23], exec
	v_mbcnt_lo_u32_b32 v0, s22, 0
	v_mbcnt_hi_u32_b32 v0, s23, v0
	v_cmp_eq_u32_e32 vcc, 0, v0
	s_and_saveexec_b64 s[20:21], vcc
	s_cbranch_execz .LBB2_306
; %bb.305:                              ;   in Loop: Header=BB2_236 Depth=1
	s_bcnt1_i32_b64 s22, s[22:23]
	v_mov_b32_e32 v0, s22
	s_waitcnt vmcnt(0)
	global_atomic_add_x2 v[5:6], v[0:1], off offset:8
.LBB2_306:                              ;   in Loop: Header=BB2_236 Depth=1
	s_or_b64 exec, exec, s[20:21]
	s_waitcnt vmcnt(0)
	global_load_dwordx2 v[7:8], v[5:6], off offset:16
	s_waitcnt vmcnt(0)
	v_cmp_eq_u64_e32 vcc, 0, v[7:8]
	s_cbranch_vccnz .LBB2_308
; %bb.307:                              ;   in Loop: Header=BB2_236 Depth=1
	global_load_dword v0, v[5:6], off offset:24
	s_waitcnt vmcnt(0)
	v_readfirstlane_b32 s20, v0
	s_and_b32 m0, s20, 0xffffff
	global_store_dwordx2 v[7:8], v[0:1], off
	s_sendmsg sendmsg(MSG_INTERRUPT)
.LBB2_308:                              ;   in Loop: Header=BB2_236 Depth=1
	s_or_b64 exec, exec, s[18:19]
	v_add_co_u32_e32 v5, vcc, v27, v32
	v_addc_co_u32_e32 v6, vcc, 0, v28, vcc
	s_branch .LBB2_312
.LBB2_309:                              ;   in Loop: Header=BB2_312 Depth=2
	s_or_b64 exec, exec, s[18:19]
	v_readfirstlane_b32 s18, v0
	s_cmp_eq_u32 s18, 0
	s_cbranch_scc1 .LBB2_311
; %bb.310:                              ;   in Loop: Header=BB2_312 Depth=2
	s_sleep 1
	s_cbranch_execnz .LBB2_312
	s_branch .LBB2_314
.LBB2_311:                              ;   in Loop: Header=BB2_236 Depth=1
	s_branch .LBB2_314
.LBB2_312:                              ;   Parent Loop BB2_236 Depth=1
                                        ; =>  This Inner Loop Header: Depth=2
	v_mov_b32_e32 v0, 1
	s_and_saveexec_b64 s[18:19], s[4:5]
	s_cbranch_execz .LBB2_309
; %bb.313:                              ;   in Loop: Header=BB2_312 Depth=2
	global_load_dword v0, v[30:31], off offset:20 glc
	s_waitcnt vmcnt(0)
	buffer_wbinvl1_vol
	v_and_b32_e32 v0, 1, v0
	s_branch .LBB2_309
.LBB2_314:                              ;   in Loop: Header=BB2_236 Depth=1
	global_load_dwordx2 v[5:6], v[5:6], off
	s_and_saveexec_b64 s[18:19], s[4:5]
	s_cbranch_execz .LBB2_235
; %bb.315:                              ;   in Loop: Header=BB2_236 Depth=1
	global_load_dwordx2 v[7:8], v1, s[8:9] offset:40
	global_load_dwordx2 v[17:18], v1, s[8:9] offset:24 glc
	global_load_dwordx2 v[9:10], v1, s[8:9]
	s_waitcnt vmcnt(2)
	v_readfirstlane_b32 s20, v7
	v_readfirstlane_b32 s21, v8
	s_add_u32 s22, s20, 1
	s_addc_u32 s23, s21, 0
	s_add_u32 s4, s22, s16
	s_addc_u32 s5, s23, s17
	s_cmp_eq_u64 s[4:5], 0
	s_cselect_b32 s5, s23, s5
	s_cselect_b32 s4, s22, s4
	s_and_b64 s[16:17], s[4:5], s[20:21]
	s_mul_i32 s17, s17, 24
	s_mul_hi_u32 s20, s16, 24
	s_mul_i32 s16, s16, 24
	s_add_i32 s17, s20, s17
	v_mov_b32_e32 v0, s17
	s_waitcnt vmcnt(0)
	v_add_co_u32_e32 v13, vcc, s16, v9
	v_addc_co_u32_e32 v14, vcc, v10, v0, vcc
	v_mov_b32_e32 v15, s4
	global_store_dwordx2 v[13:14], v[17:18], off
	v_mov_b32_e32 v16, s5
	s_waitcnt vmcnt(0)
	global_atomic_cmpswap_x2 v[9:10], v1, v[15:18], s[8:9] offset:24 glc
	s_waitcnt vmcnt(0)
	v_cmp_ne_u64_e32 vcc, v[9:10], v[17:18]
	s_and_b64 exec, exec, vcc
	s_cbranch_execz .LBB2_235
; %bb.316:                              ;   in Loop: Header=BB2_236 Depth=1
	s_mov_b64 s[16:17], 0
.LBB2_317:                              ;   Parent Loop BB2_236 Depth=1
                                        ; =>  This Inner Loop Header: Depth=2
	s_sleep 1
	global_store_dwordx2 v[13:14], v[9:10], off
	v_mov_b32_e32 v7, s4
	v_mov_b32_e32 v8, s5
	s_waitcnt vmcnt(0)
	global_atomic_cmpswap_x2 v[7:8], v1, v[7:10], s[8:9] offset:24 glc
	s_waitcnt vmcnt(0)
	v_cmp_eq_u64_e32 vcc, v[7:8], v[9:10]
	v_mov_b32_e32 v10, v8
	s_or_b64 s[16:17], vcc, s[16:17]
	v_mov_b32_e32 v9, v7
	s_andn2_b64 exec, exec, s[16:17]
	s_cbranch_execnz .LBB2_317
	s_branch .LBB2_235
.LBB2_318:
	s_branch .LBB2_346
.LBB2_319:
                                        ; implicit-def: $vgpr5_vgpr6
	s_cbranch_execz .LBB2_346
; %bb.320:
	v_readfirstlane_b32 s4, v33
	v_mov_b32_e32 v0, 0
	v_mov_b32_e32 v1, 0
	v_cmp_eq_u32_e64 s[4:5], s4, v33
	s_and_saveexec_b64 s[10:11], s[4:5]
	s_cbranch_execz .LBB2_326
; %bb.321:
	s_waitcnt vmcnt(0)
	v_mov_b32_e32 v5, 0
	global_load_dwordx2 v[8:9], v5, s[8:9] offset:24 glc
	s_waitcnt vmcnt(0)
	buffer_wbinvl1_vol
	global_load_dwordx2 v[0:1], v5, s[8:9] offset:40
	global_load_dwordx2 v[6:7], v5, s[8:9]
	s_waitcnt vmcnt(1)
	v_and_b32_e32 v0, v0, v8
	v_and_b32_e32 v1, v1, v9
	v_mul_lo_u32 v1, v1, 24
	v_mul_hi_u32 v10, v0, 24
	v_mul_lo_u32 v0, v0, 24
	v_add_u32_e32 v1, v10, v1
	s_waitcnt vmcnt(0)
	v_add_co_u32_e32 v0, vcc, v6, v0
	v_addc_co_u32_e32 v1, vcc, v7, v1, vcc
	global_load_dwordx2 v[6:7], v[0:1], off glc
	s_waitcnt vmcnt(0)
	global_atomic_cmpswap_x2 v[0:1], v5, v[6:9], s[8:9] offset:24 glc
	s_waitcnt vmcnt(0)
	buffer_wbinvl1_vol
	v_cmp_ne_u64_e32 vcc, v[0:1], v[8:9]
	s_and_saveexec_b64 s[12:13], vcc
	s_cbranch_execz .LBB2_325
; %bb.322:
	s_mov_b64 s[14:15], 0
.LBB2_323:                              ; =>This Inner Loop Header: Depth=1
	s_sleep 1
	global_load_dwordx2 v[6:7], v5, s[8:9] offset:40
	global_load_dwordx2 v[10:11], v5, s[8:9]
	v_mov_b32_e32 v9, v1
	v_mov_b32_e32 v8, v0
	s_waitcnt vmcnt(1)
	v_and_b32_e32 v0, v6, v8
	s_waitcnt vmcnt(0)
	v_mad_u64_u32 v[0:1], s[16:17], v0, 24, v[10:11]
	v_and_b32_e32 v6, v7, v9
	v_mad_u64_u32 v[6:7], s[16:17], v6, 24, v[1:2]
	v_mov_b32_e32 v1, v6
	global_load_dwordx2 v[6:7], v[0:1], off glc
	s_waitcnt vmcnt(0)
	global_atomic_cmpswap_x2 v[0:1], v5, v[6:9], s[8:9] offset:24 glc
	s_waitcnt vmcnt(0)
	buffer_wbinvl1_vol
	v_cmp_eq_u64_e32 vcc, v[0:1], v[8:9]
	s_or_b64 s[14:15], vcc, s[14:15]
	s_andn2_b64 exec, exec, s[14:15]
	s_cbranch_execnz .LBB2_323
; %bb.324:
	s_or_b64 exec, exec, s[14:15]
.LBB2_325:
	s_or_b64 exec, exec, s[12:13]
.LBB2_326:
	s_or_b64 exec, exec, s[10:11]
	s_waitcnt vmcnt(0)
	v_mov_b32_e32 v5, 0
	global_load_dwordx2 v[11:12], v5, s[8:9] offset:40
	global_load_dwordx4 v[7:10], v5, s[8:9]
	v_readfirstlane_b32 s11, v1
	v_readfirstlane_b32 s10, v0
	s_mov_b64 s[12:13], exec
	s_waitcnt vmcnt(1)
	v_readfirstlane_b32 s14, v11
	v_readfirstlane_b32 s15, v12
	s_and_b64 s[14:15], s[14:15], s[10:11]
	s_mul_i32 s16, s15, 24
	s_mul_hi_u32 s17, s14, 24
	s_mul_i32 s18, s14, 24
	s_add_i32 s16, s17, s16
	v_mov_b32_e32 v1, s16
	s_waitcnt vmcnt(0)
	v_add_co_u32_e32 v0, vcc, s18, v7
	v_addc_co_u32_e32 v1, vcc, v8, v1, vcc
	s_and_saveexec_b64 s[16:17], s[4:5]
	s_cbranch_execz .LBB2_328
; %bb.327:
	v_mov_b32_e32 v11, s12
	v_mov_b32_e32 v12, s13
	;; [unrolled: 1-line block ×4, first 2 shown]
	global_store_dwordx4 v[0:1], v[11:14], off offset:8
.LBB2_328:
	s_or_b64 exec, exec, s[16:17]
	s_lshl_b64 s[12:13], s[14:15], 12
	v_mov_b32_e32 v6, s13
	v_add_co_u32_e32 v11, vcc, s12, v9
	v_addc_co_u32_e32 v12, vcc, v10, v6, vcc
	s_movk_i32 s12, 0xff1f
	v_and_or_b32 v3, v3, s12, 32
	s_mov_b32 s12, 0
	v_mov_b32_e32 v6, v5
	v_readfirstlane_b32 s16, v11
	v_readfirstlane_b32 s17, v12
	v_add_co_u32_e32 v9, vcc, v11, v32
	s_mov_b32 s13, s12
	s_mov_b32 s14, s12
	;; [unrolled: 1-line block ×3, first 2 shown]
	s_nop 0
	global_store_dwordx4 v32, v[3:6], s[16:17]
	v_addc_co_u32_e32 v10, vcc, 0, v12, vcc
	v_mov_b32_e32 v3, s12
	v_mov_b32_e32 v4, s13
	;; [unrolled: 1-line block ×4, first 2 shown]
	global_store_dwordx4 v32, v[3:6], s[16:17] offset:16
	global_store_dwordx4 v32, v[3:6], s[16:17] offset:32
	;; [unrolled: 1-line block ×3, first 2 shown]
	s_and_saveexec_b64 s[12:13], s[4:5]
	s_cbranch_execz .LBB2_336
; %bb.329:
	v_mov_b32_e32 v11, 0
	global_load_dwordx2 v[14:15], v11, s[8:9] offset:32 glc
	global_load_dwordx2 v[3:4], v11, s[8:9] offset:40
	v_mov_b32_e32 v12, s10
	v_mov_b32_e32 v13, s11
	s_waitcnt vmcnt(0)
	v_readfirstlane_b32 s14, v3
	v_readfirstlane_b32 s15, v4
	s_and_b64 s[14:15], s[14:15], s[10:11]
	s_mul_i32 s15, s15, 24
	s_mul_hi_u32 s16, s14, 24
	s_mul_i32 s14, s14, 24
	s_add_i32 s15, s16, s15
	v_mov_b32_e32 v3, s15
	v_add_co_u32_e32 v7, vcc, s14, v7
	v_addc_co_u32_e32 v8, vcc, v8, v3, vcc
	global_store_dwordx2 v[7:8], v[14:15], off
	s_waitcnt vmcnt(0)
	global_atomic_cmpswap_x2 v[5:6], v11, v[12:15], s[8:9] offset:32 glc
	s_waitcnt vmcnt(0)
	v_cmp_ne_u64_e32 vcc, v[5:6], v[14:15]
	s_and_saveexec_b64 s[14:15], vcc
	s_cbranch_execz .LBB2_332
; %bb.330:
	s_mov_b64 s[16:17], 0
.LBB2_331:                              ; =>This Inner Loop Header: Depth=1
	s_sleep 1
	global_store_dwordx2 v[7:8], v[5:6], off
	v_mov_b32_e32 v3, s10
	v_mov_b32_e32 v4, s11
	s_waitcnt vmcnt(0)
	global_atomic_cmpswap_x2 v[3:4], v11, v[3:6], s[8:9] offset:32 glc
	s_waitcnt vmcnt(0)
	v_cmp_eq_u64_e32 vcc, v[3:4], v[5:6]
	v_mov_b32_e32 v6, v4
	s_or_b64 s[16:17], vcc, s[16:17]
	v_mov_b32_e32 v5, v3
	s_andn2_b64 exec, exec, s[16:17]
	s_cbranch_execnz .LBB2_331
.LBB2_332:
	s_or_b64 exec, exec, s[14:15]
	v_mov_b32_e32 v6, 0
	global_load_dwordx2 v[3:4], v6, s[8:9] offset:16
	s_mov_b64 s[14:15], exec
	v_mbcnt_lo_u32_b32 v5, s14, 0
	v_mbcnt_hi_u32_b32 v5, s15, v5
	v_cmp_eq_u32_e32 vcc, 0, v5
	s_and_saveexec_b64 s[16:17], vcc
	s_cbranch_execz .LBB2_334
; %bb.333:
	s_bcnt1_i32_b64 s14, s[14:15]
	v_mov_b32_e32 v5, s14
	s_waitcnt vmcnt(0)
	global_atomic_add_x2 v[3:4], v[5:6], off offset:8
.LBB2_334:
	s_or_b64 exec, exec, s[16:17]
	s_waitcnt vmcnt(0)
	global_load_dwordx2 v[5:6], v[3:4], off offset:16
	s_waitcnt vmcnt(0)
	v_cmp_eq_u64_e32 vcc, 0, v[5:6]
	s_cbranch_vccnz .LBB2_336
; %bb.335:
	global_load_dword v3, v[3:4], off offset:24
	v_mov_b32_e32 v4, 0
	s_waitcnt vmcnt(0)
	v_readfirstlane_b32 s14, v3
	s_and_b32 m0, s14, 0xffffff
	global_store_dwordx2 v[5:6], v[3:4], off
	s_sendmsg sendmsg(MSG_INTERRUPT)
.LBB2_336:
	s_or_b64 exec, exec, s[12:13]
	s_branch .LBB2_340
.LBB2_337:                              ;   in Loop: Header=BB2_340 Depth=1
	s_or_b64 exec, exec, s[12:13]
	v_readfirstlane_b32 s12, v3
	s_cmp_eq_u32 s12, 0
	s_cbranch_scc1 .LBB2_339
; %bb.338:                              ;   in Loop: Header=BB2_340 Depth=1
	s_sleep 1
	s_cbranch_execnz .LBB2_340
	s_branch .LBB2_342
.LBB2_339:
	s_branch .LBB2_342
.LBB2_340:                              ; =>This Inner Loop Header: Depth=1
	v_mov_b32_e32 v3, 1
	s_and_saveexec_b64 s[12:13], s[4:5]
	s_cbranch_execz .LBB2_337
; %bb.341:                              ;   in Loop: Header=BB2_340 Depth=1
	global_load_dword v3, v[0:1], off offset:20 glc
	s_waitcnt vmcnt(0)
	buffer_wbinvl1_vol
	v_and_b32_e32 v3, 1, v3
	s_branch .LBB2_337
.LBB2_342:
	global_load_dwordx2 v[5:6], v[9:10], off
	s_and_saveexec_b64 s[12:13], s[4:5]
	s_cbranch_execz .LBB2_345
; %bb.343:
	v_mov_b32_e32 v3, 0
	global_load_dwordx2 v[0:1], v3, s[8:9] offset:40
	global_load_dwordx2 v[11:12], v3, s[8:9] offset:24 glc
	global_load_dwordx2 v[7:8], v3, s[8:9]
	s_waitcnt vmcnt(2)
	v_readfirstlane_b32 s14, v0
	v_readfirstlane_b32 s15, v1
	s_add_u32 s16, s14, 1
	s_addc_u32 s17, s15, 0
	s_add_u32 s4, s16, s10
	s_addc_u32 s5, s17, s11
	s_cmp_eq_u64 s[4:5], 0
	s_cselect_b32 s5, s17, s5
	s_cselect_b32 s4, s16, s4
	s_and_b64 s[10:11], s[4:5], s[14:15]
	s_mul_i32 s11, s11, 24
	s_mul_hi_u32 s14, s10, 24
	s_mul_i32 s10, s10, 24
	s_add_i32 s11, s14, s11
	v_mov_b32_e32 v1, s11
	s_waitcnt vmcnt(0)
	v_add_co_u32_e32 v0, vcc, s10, v7
	v_addc_co_u32_e32 v1, vcc, v8, v1, vcc
	v_mov_b32_e32 v9, s4
	global_store_dwordx2 v[0:1], v[11:12], off
	v_mov_b32_e32 v10, s5
	s_waitcnt vmcnt(0)
	global_atomic_cmpswap_x2 v[9:10], v3, v[9:12], s[8:9] offset:24 glc
	s_mov_b64 s[10:11], 0
	s_waitcnt vmcnt(0)
	v_cmp_ne_u64_e32 vcc, v[9:10], v[11:12]
	s_and_b64 exec, exec, vcc
	s_cbranch_execz .LBB2_345
.LBB2_344:                              ; =>This Inner Loop Header: Depth=1
	s_sleep 1
	global_store_dwordx2 v[0:1], v[9:10], off
	v_mov_b32_e32 v7, s4
	v_mov_b32_e32 v8, s5
	s_waitcnt vmcnt(0)
	global_atomic_cmpswap_x2 v[7:8], v3, v[7:10], s[8:9] offset:24 glc
	s_waitcnt vmcnt(0)
	v_cmp_eq_u64_e32 vcc, v[7:8], v[9:10]
	v_mov_b32_e32 v10, v8
	s_or_b64 s[10:11], vcc, s[10:11]
	v_mov_b32_e32 v9, v7
	s_andn2_b64 exec, exec, s[10:11]
	s_cbranch_execnz .LBB2_344
.LBB2_345:
	s_or_b64 exec, exec, s[12:13]
.LBB2_346:
	v_readfirstlane_b32 s4, v33
	v_mov_b32_e32 v0, 0
	v_mov_b32_e32 v1, 0
	v_cmp_eq_u32_e64 s[4:5], s4, v33
	s_and_saveexec_b64 s[10:11], s[4:5]
	s_cbranch_execz .LBB2_352
; %bb.347:
	s_waitcnt vmcnt(0)
	v_mov_b32_e32 v3, 0
	global_load_dwordx2 v[9:10], v3, s[8:9] offset:24 glc
	s_waitcnt vmcnt(0)
	buffer_wbinvl1_vol
	global_load_dwordx2 v[0:1], v3, s[8:9] offset:40
	global_load_dwordx2 v[7:8], v3, s[8:9]
	s_waitcnt vmcnt(1)
	v_and_b32_e32 v0, v0, v9
	v_and_b32_e32 v1, v1, v10
	v_mul_lo_u32 v1, v1, 24
	v_mul_hi_u32 v4, v0, 24
	v_mul_lo_u32 v0, v0, 24
	v_add_u32_e32 v1, v4, v1
	s_waitcnt vmcnt(0)
	v_add_co_u32_e32 v0, vcc, v7, v0
	v_addc_co_u32_e32 v1, vcc, v8, v1, vcc
	global_load_dwordx2 v[7:8], v[0:1], off glc
	s_waitcnt vmcnt(0)
	global_atomic_cmpswap_x2 v[0:1], v3, v[7:10], s[8:9] offset:24 glc
	s_waitcnt vmcnt(0)
	buffer_wbinvl1_vol
	v_cmp_ne_u64_e32 vcc, v[0:1], v[9:10]
	s_and_saveexec_b64 s[12:13], vcc
	s_cbranch_execz .LBB2_351
; %bb.348:
	s_mov_b64 s[14:15], 0
.LBB2_349:                              ; =>This Inner Loop Header: Depth=1
	s_sleep 1
	global_load_dwordx2 v[7:8], v3, s[8:9] offset:40
	global_load_dwordx2 v[11:12], v3, s[8:9]
	v_mov_b32_e32 v10, v1
	v_mov_b32_e32 v9, v0
	s_waitcnt vmcnt(1)
	v_and_b32_e32 v0, v7, v9
	s_waitcnt vmcnt(0)
	v_mad_u64_u32 v[0:1], s[16:17], v0, 24, v[11:12]
	v_and_b32_e32 v4, v8, v10
	v_mad_u64_u32 v[7:8], s[16:17], v4, 24, v[1:2]
	v_mov_b32_e32 v1, v7
	global_load_dwordx2 v[7:8], v[0:1], off glc
	s_waitcnt vmcnt(0)
	global_atomic_cmpswap_x2 v[0:1], v3, v[7:10], s[8:9] offset:24 glc
	s_waitcnt vmcnt(0)
	buffer_wbinvl1_vol
	v_cmp_eq_u64_e32 vcc, v[0:1], v[9:10]
	s_or_b64 s[14:15], vcc, s[14:15]
	s_andn2_b64 exec, exec, s[14:15]
	s_cbranch_execnz .LBB2_349
; %bb.350:
	s_or_b64 exec, exec, s[14:15]
.LBB2_351:
	s_or_b64 exec, exec, s[12:13]
.LBB2_352:
	s_or_b64 exec, exec, s[10:11]
	v_mov_b32_e32 v8, 0
	global_load_dwordx2 v[3:4], v8, s[8:9] offset:40
	global_load_dwordx4 v[9:12], v8, s[8:9]
	v_readfirstlane_b32 s11, v1
	v_readfirstlane_b32 s10, v0
	s_mov_b64 s[12:13], exec
	s_waitcnt vmcnt(1)
	v_readfirstlane_b32 s14, v3
	v_readfirstlane_b32 s15, v4
	s_and_b64 s[14:15], s[14:15], s[10:11]
	s_mul_i32 s16, s15, 24
	s_mul_hi_u32 s17, s14, 24
	s_mul_i32 s18, s14, 24
	s_add_i32 s16, s17, s16
	v_mov_b32_e32 v1, s16
	s_waitcnt vmcnt(0)
	v_add_co_u32_e32 v0, vcc, s18, v9
	v_addc_co_u32_e32 v1, vcc, v10, v1, vcc
	s_and_saveexec_b64 s[16:17], s[4:5]
	s_cbranch_execz .LBB2_354
; %bb.353:
	v_mov_b32_e32 v14, s13
	v_mov_b32_e32 v13, s12
	;; [unrolled: 1-line block ×4, first 2 shown]
	global_store_dwordx4 v[0:1], v[13:16], off offset:8
.LBB2_354:
	s_or_b64 exec, exec, s[16:17]
	s_lshl_b64 s[12:13], s[14:15], 12
	v_mov_b32_e32 v3, s13
	v_add_co_u32_e32 v4, vcc, s12, v11
	v_addc_co_u32_e32 v3, vcc, v12, v3, vcc
	s_movk_i32 s12, 0xff1f
	v_and_or_b32 v5, v5, s12, 32
	v_add_co_u32_e32 v11, vcc, v4, v32
	s_mov_b32 s12, 0
	v_mov_b32_e32 v7, 7
	v_readfirstlane_b32 s16, v4
	v_readfirstlane_b32 s17, v3
	v_addc_co_u32_e32 v12, vcc, 0, v3, vcc
	s_mov_b32 s13, s12
	s_mov_b32 s14, s12
	;; [unrolled: 1-line block ×3, first 2 shown]
	s_nop 0
	global_store_dwordx4 v32, v[5:8], s[16:17]
	v_mov_b32_e32 v3, s12
	v_mov_b32_e32 v4, s13
	;; [unrolled: 1-line block ×4, first 2 shown]
	global_store_dwordx4 v32, v[3:6], s[16:17] offset:16
	global_store_dwordx4 v32, v[3:6], s[16:17] offset:32
	;; [unrolled: 1-line block ×3, first 2 shown]
	s_and_saveexec_b64 s[12:13], s[4:5]
	s_cbranch_execz .LBB2_362
; %bb.355:
	v_mov_b32_e32 v13, 0
	global_load_dwordx2 v[16:17], v13, s[8:9] offset:32 glc
	global_load_dwordx2 v[3:4], v13, s[8:9] offset:40
	v_mov_b32_e32 v14, s10
	v_mov_b32_e32 v15, s11
	s_waitcnt vmcnt(0)
	v_readfirstlane_b32 s14, v3
	v_readfirstlane_b32 s15, v4
	s_and_b64 s[14:15], s[14:15], s[10:11]
	s_mul_i32 s15, s15, 24
	s_mul_hi_u32 s16, s14, 24
	s_mul_i32 s14, s14, 24
	s_add_i32 s15, s16, s15
	v_mov_b32_e32 v3, s15
	v_add_co_u32_e32 v7, vcc, s14, v9
	v_addc_co_u32_e32 v8, vcc, v10, v3, vcc
	global_store_dwordx2 v[7:8], v[16:17], off
	s_waitcnt vmcnt(0)
	global_atomic_cmpswap_x2 v[5:6], v13, v[14:17], s[8:9] offset:32 glc
	s_waitcnt vmcnt(0)
	v_cmp_ne_u64_e32 vcc, v[5:6], v[16:17]
	s_and_saveexec_b64 s[14:15], vcc
	s_cbranch_execz .LBB2_358
; %bb.356:
	s_mov_b64 s[16:17], 0
.LBB2_357:                              ; =>This Inner Loop Header: Depth=1
	s_sleep 1
	global_store_dwordx2 v[7:8], v[5:6], off
	v_mov_b32_e32 v3, s10
	v_mov_b32_e32 v4, s11
	s_waitcnt vmcnt(0)
	global_atomic_cmpswap_x2 v[3:4], v13, v[3:6], s[8:9] offset:32 glc
	s_waitcnt vmcnt(0)
	v_cmp_eq_u64_e32 vcc, v[3:4], v[5:6]
	v_mov_b32_e32 v6, v4
	s_or_b64 s[16:17], vcc, s[16:17]
	v_mov_b32_e32 v5, v3
	s_andn2_b64 exec, exec, s[16:17]
	s_cbranch_execnz .LBB2_357
.LBB2_358:
	s_or_b64 exec, exec, s[14:15]
	v_mov_b32_e32 v6, 0
	global_load_dwordx2 v[3:4], v6, s[8:9] offset:16
	s_mov_b64 s[14:15], exec
	v_mbcnt_lo_u32_b32 v5, s14, 0
	v_mbcnt_hi_u32_b32 v5, s15, v5
	v_cmp_eq_u32_e32 vcc, 0, v5
	s_and_saveexec_b64 s[16:17], vcc
	s_cbranch_execz .LBB2_360
; %bb.359:
	s_bcnt1_i32_b64 s14, s[14:15]
	v_mov_b32_e32 v5, s14
	s_waitcnt vmcnt(0)
	global_atomic_add_x2 v[3:4], v[5:6], off offset:8
.LBB2_360:
	s_or_b64 exec, exec, s[16:17]
	s_waitcnt vmcnt(0)
	global_load_dwordx2 v[5:6], v[3:4], off offset:16
	s_waitcnt vmcnt(0)
	v_cmp_eq_u64_e32 vcc, 0, v[5:6]
	s_cbranch_vccnz .LBB2_362
; %bb.361:
	global_load_dword v3, v[3:4], off offset:24
	v_mov_b32_e32 v4, 0
	s_waitcnt vmcnt(0)
	v_readfirstlane_b32 s14, v3
	s_and_b32 m0, s14, 0xffffff
	global_store_dwordx2 v[5:6], v[3:4], off
	s_sendmsg sendmsg(MSG_INTERRUPT)
.LBB2_362:
	s_or_b64 exec, exec, s[12:13]
	s_branch .LBB2_366
.LBB2_363:                              ;   in Loop: Header=BB2_366 Depth=1
	s_or_b64 exec, exec, s[12:13]
	v_readfirstlane_b32 s12, v3
	s_cmp_eq_u32 s12, 0
	s_cbranch_scc1 .LBB2_365
; %bb.364:                              ;   in Loop: Header=BB2_366 Depth=1
	s_sleep 1
	s_cbranch_execnz .LBB2_366
	s_branch .LBB2_368
.LBB2_365:
	s_branch .LBB2_368
.LBB2_366:                              ; =>This Inner Loop Header: Depth=1
	v_mov_b32_e32 v3, 1
	s_and_saveexec_b64 s[12:13], s[4:5]
	s_cbranch_execz .LBB2_363
; %bb.367:                              ;   in Loop: Header=BB2_366 Depth=1
	global_load_dword v3, v[0:1], off offset:20 glc
	s_waitcnt vmcnt(0)
	buffer_wbinvl1_vol
	v_and_b32_e32 v3, 1, v3
	s_branch .LBB2_363
.LBB2_368:
	global_load_dwordx2 v[0:1], v[11:12], off
	s_and_saveexec_b64 s[12:13], s[4:5]
	s_cbranch_execz .LBB2_371
; %bb.369:
	v_mov_b32_e32 v9, 0
	global_load_dwordx2 v[3:4], v9, s[8:9] offset:40
	global_load_dwordx2 v[12:13], v9, s[8:9] offset:24 glc
	global_load_dwordx2 v[5:6], v9, s[8:9]
	s_waitcnt vmcnt(2)
	v_readfirstlane_b32 s14, v3
	v_readfirstlane_b32 s15, v4
	s_add_u32 s16, s14, 1
	s_addc_u32 s17, s15, 0
	s_add_u32 s4, s16, s10
	s_addc_u32 s5, s17, s11
	s_cmp_eq_u64 s[4:5], 0
	s_cselect_b32 s5, s17, s5
	s_cselect_b32 s4, s16, s4
	s_and_b64 s[10:11], s[4:5], s[14:15]
	s_mul_i32 s11, s11, 24
	s_mul_hi_u32 s14, s10, 24
	s_mul_i32 s10, s10, 24
	s_add_i32 s11, s14, s11
	v_mov_b32_e32 v3, s11
	s_waitcnt vmcnt(0)
	v_add_co_u32_e32 v7, vcc, s10, v5
	v_addc_co_u32_e32 v8, vcc, v6, v3, vcc
	v_mov_b32_e32 v10, s4
	global_store_dwordx2 v[7:8], v[12:13], off
	v_mov_b32_e32 v11, s5
	s_waitcnt vmcnt(0)
	global_atomic_cmpswap_x2 v[5:6], v9, v[10:13], s[8:9] offset:24 glc
	s_mov_b64 s[10:11], 0
	s_waitcnt vmcnt(0)
	v_cmp_ne_u64_e32 vcc, v[5:6], v[12:13]
	s_and_b64 exec, exec, vcc
	s_cbranch_execz .LBB2_371
.LBB2_370:                              ; =>This Inner Loop Header: Depth=1
	s_sleep 1
	global_store_dwordx2 v[7:8], v[5:6], off
	v_mov_b32_e32 v3, s4
	v_mov_b32_e32 v4, s5
	s_waitcnt vmcnt(0)
	global_atomic_cmpswap_x2 v[3:4], v9, v[3:6], s[8:9] offset:24 glc
	s_waitcnt vmcnt(0)
	v_cmp_eq_u64_e32 vcc, v[3:4], v[5:6]
	v_mov_b32_e32 v6, v4
	s_or_b64 s[10:11], vcc, s[10:11]
	v_mov_b32_e32 v5, v3
	s_andn2_b64 exec, exec, s[10:11]
	s_cbranch_execnz .LBB2_370
.LBB2_371:
	s_or_b64 exec, exec, s[12:13]
	v_readfirstlane_b32 s4, v33
	v_mov_b32_e32 v8, 0
	v_mov_b32_e32 v9, 0
	v_cmp_eq_u32_e64 s[4:5], s4, v33
	s_and_saveexec_b64 s[10:11], s[4:5]
	s_cbranch_execz .LBB2_377
; %bb.372:
	v_mov_b32_e32 v3, 0
	global_load_dwordx2 v[6:7], v3, s[8:9] offset:24 glc
	s_waitcnt vmcnt(0)
	buffer_wbinvl1_vol
	global_load_dwordx2 v[4:5], v3, s[8:9] offset:40
	global_load_dwordx2 v[8:9], v3, s[8:9]
	s_waitcnt vmcnt(1)
	v_and_b32_e32 v4, v4, v6
	v_and_b32_e32 v5, v5, v7
	v_mul_lo_u32 v5, v5, 24
	v_mul_hi_u32 v10, v4, 24
	v_mul_lo_u32 v4, v4, 24
	v_add_u32_e32 v5, v10, v5
	s_waitcnt vmcnt(0)
	v_add_co_u32_e32 v4, vcc, v8, v4
	v_addc_co_u32_e32 v5, vcc, v9, v5, vcc
	global_load_dwordx2 v[4:5], v[4:5], off glc
	s_waitcnt vmcnt(0)
	global_atomic_cmpswap_x2 v[8:9], v3, v[4:7], s[8:9] offset:24 glc
	s_waitcnt vmcnt(0)
	buffer_wbinvl1_vol
	v_cmp_ne_u64_e32 vcc, v[8:9], v[6:7]
	s_and_saveexec_b64 s[12:13], vcc
	s_cbranch_execz .LBB2_376
; %bb.373:
	s_mov_b64 s[14:15], 0
.LBB2_374:                              ; =>This Inner Loop Header: Depth=1
	s_sleep 1
	global_load_dwordx2 v[4:5], v3, s[8:9] offset:40
	global_load_dwordx2 v[10:11], v3, s[8:9]
	v_mov_b32_e32 v6, v8
	v_mov_b32_e32 v7, v9
	s_waitcnt vmcnt(1)
	v_and_b32_e32 v4, v4, v6
	s_waitcnt vmcnt(0)
	v_mad_u64_u32 v[8:9], s[16:17], v4, 24, v[10:11]
	v_and_b32_e32 v5, v5, v7
	v_mov_b32_e32 v4, v9
	v_mad_u64_u32 v[4:5], s[16:17], v5, 24, v[4:5]
	v_mov_b32_e32 v9, v4
	global_load_dwordx2 v[4:5], v[8:9], off glc
	s_waitcnt vmcnt(0)
	global_atomic_cmpswap_x2 v[8:9], v3, v[4:7], s[8:9] offset:24 glc
	s_waitcnt vmcnt(0)
	buffer_wbinvl1_vol
	v_cmp_eq_u64_e32 vcc, v[8:9], v[6:7]
	s_or_b64 s[14:15], vcc, s[14:15]
	s_andn2_b64 exec, exec, s[14:15]
	s_cbranch_execnz .LBB2_374
; %bb.375:
	s_or_b64 exec, exec, s[14:15]
.LBB2_376:
	s_or_b64 exec, exec, s[12:13]
.LBB2_377:
	s_or_b64 exec, exec, s[10:11]
	v_mov_b32_e32 v3, 0
	global_load_dwordx2 v[10:11], v3, s[8:9] offset:40
	global_load_dwordx4 v[4:7], v3, s[8:9]
	v_readfirstlane_b32 s11, v9
	v_readfirstlane_b32 s10, v8
	s_mov_b64 s[12:13], exec
	s_waitcnt vmcnt(1)
	v_readfirstlane_b32 s14, v10
	v_readfirstlane_b32 s15, v11
	s_and_b64 s[14:15], s[14:15], s[10:11]
	s_mul_i32 s16, s15, 24
	s_mul_hi_u32 s17, s14, 24
	s_mul_i32 s18, s14, 24
	s_add_i32 s16, s17, s16
	v_mov_b32_e32 v9, s16
	s_waitcnt vmcnt(0)
	v_add_co_u32_e32 v8, vcc, s18, v4
	v_addc_co_u32_e32 v9, vcc, v5, v9, vcc
	s_and_saveexec_b64 s[16:17], s[4:5]
	s_cbranch_execz .LBB2_379
; %bb.378:
	v_mov_b32_e32 v10, s12
	v_mov_b32_e32 v11, s13
	;; [unrolled: 1-line block ×4, first 2 shown]
	global_store_dwordx4 v[8:9], v[10:13], off offset:8
.LBB2_379:
	s_or_b64 exec, exec, s[16:17]
	s_lshl_b64 s[12:13], s[14:15], 12
	v_add_co_u32_e32 v6, vcc, s12, v6
	s_movk_i32 s12, 0xff1d
	v_mov_b32_e32 v10, s13
	v_and_or_b32 v0, v0, s12, 34
	s_mov_b32 s12, 0
	v_addc_co_u32_e32 v7, vcc, v7, v10, vcc
	s_mov_b32 s13, s12
	s_mov_b32 s14, s12
	;; [unrolled: 1-line block ×3, first 2 shown]
	v_mov_b32_e32 v10, s12
	v_readfirstlane_b32 s16, v6
	v_readfirstlane_b32 s17, v7
	v_mov_b32_e32 v11, s13
	v_mov_b32_e32 v12, s14
	;; [unrolled: 1-line block ×3, first 2 shown]
	s_nop 1
	global_store_dwordx4 v32, v[0:3], s[16:17]
	global_store_dwordx4 v32, v[10:13], s[16:17] offset:16
	global_store_dwordx4 v32, v[10:13], s[16:17] offset:32
	;; [unrolled: 1-line block ×3, first 2 shown]
	s_and_saveexec_b64 s[12:13], s[4:5]
	s_cbranch_execz .LBB2_387
; %bb.380:
	v_mov_b32_e32 v7, 0
	global_load_dwordx2 v[12:13], v7, s[8:9] offset:32 glc
	global_load_dwordx2 v[0:1], v7, s[8:9] offset:40
	v_mov_b32_e32 v10, s10
	v_mov_b32_e32 v11, s11
	s_waitcnt vmcnt(0)
	v_readfirstlane_b32 s14, v0
	v_readfirstlane_b32 s15, v1
	s_and_b64 s[14:15], s[14:15], s[10:11]
	s_mul_i32 s15, s15, 24
	s_mul_hi_u32 s16, s14, 24
	s_mul_i32 s14, s14, 24
	s_add_i32 s15, s16, s15
	v_mov_b32_e32 v1, s15
	v_add_co_u32_e32 v0, vcc, s14, v4
	v_addc_co_u32_e32 v1, vcc, v5, v1, vcc
	global_store_dwordx2 v[0:1], v[12:13], off
	s_waitcnt vmcnt(0)
	global_atomic_cmpswap_x2 v[5:6], v7, v[10:13], s[8:9] offset:32 glc
	s_waitcnt vmcnt(0)
	v_cmp_ne_u64_e32 vcc, v[5:6], v[12:13]
	s_and_saveexec_b64 s[14:15], vcc
	s_cbranch_execz .LBB2_383
; %bb.381:
	s_mov_b64 s[16:17], 0
.LBB2_382:                              ; =>This Inner Loop Header: Depth=1
	s_sleep 1
	global_store_dwordx2 v[0:1], v[5:6], off
	v_mov_b32_e32 v3, s10
	v_mov_b32_e32 v4, s11
	s_waitcnt vmcnt(0)
	global_atomic_cmpswap_x2 v[3:4], v7, v[3:6], s[8:9] offset:32 glc
	s_waitcnt vmcnt(0)
	v_cmp_eq_u64_e32 vcc, v[3:4], v[5:6]
	v_mov_b32_e32 v6, v4
	s_or_b64 s[16:17], vcc, s[16:17]
	v_mov_b32_e32 v5, v3
	s_andn2_b64 exec, exec, s[16:17]
	s_cbranch_execnz .LBB2_382
.LBB2_383:
	s_or_b64 exec, exec, s[14:15]
	v_mov_b32_e32 v4, 0
	global_load_dwordx2 v[0:1], v4, s[8:9] offset:16
	s_mov_b64 s[14:15], exec
	v_mbcnt_lo_u32_b32 v3, s14, 0
	v_mbcnt_hi_u32_b32 v3, s15, v3
	v_cmp_eq_u32_e32 vcc, 0, v3
	s_and_saveexec_b64 s[16:17], vcc
	s_cbranch_execz .LBB2_385
; %bb.384:
	s_bcnt1_i32_b64 s14, s[14:15]
	v_mov_b32_e32 v3, s14
	s_waitcnt vmcnt(0)
	global_atomic_add_x2 v[0:1], v[3:4], off offset:8
.LBB2_385:
	s_or_b64 exec, exec, s[16:17]
	s_waitcnt vmcnt(0)
	global_load_dwordx2 v[3:4], v[0:1], off offset:16
	s_waitcnt vmcnt(0)
	v_cmp_eq_u64_e32 vcc, 0, v[3:4]
	s_cbranch_vccnz .LBB2_387
; %bb.386:
	global_load_dword v0, v[0:1], off offset:24
	v_mov_b32_e32 v1, 0
	s_waitcnt vmcnt(0)
	v_readfirstlane_b32 s14, v0
	s_and_b32 m0, s14, 0xffffff
	global_store_dwordx2 v[3:4], v[0:1], off
	s_sendmsg sendmsg(MSG_INTERRUPT)
.LBB2_387:
	s_or_b64 exec, exec, s[12:13]
	s_branch .LBB2_391
.LBB2_388:                              ;   in Loop: Header=BB2_391 Depth=1
	s_or_b64 exec, exec, s[12:13]
	v_readfirstlane_b32 s12, v0
	s_cmp_eq_u32 s12, 0
	s_cbranch_scc1 .LBB2_390
; %bb.389:                              ;   in Loop: Header=BB2_391 Depth=1
	s_sleep 1
	s_cbranch_execnz .LBB2_391
	s_branch .LBB2_393
.LBB2_390:
	s_branch .LBB2_393
.LBB2_391:                              ; =>This Inner Loop Header: Depth=1
	v_mov_b32_e32 v0, 1
	s_and_saveexec_b64 s[12:13], s[4:5]
	s_cbranch_execz .LBB2_388
; %bb.392:                              ;   in Loop: Header=BB2_391 Depth=1
	global_load_dword v0, v[8:9], off offset:20 glc
	s_waitcnt vmcnt(0)
	buffer_wbinvl1_vol
	v_and_b32_e32 v0, 1, v0
	s_branch .LBB2_388
.LBB2_393:
	s_and_saveexec_b64 s[12:13], s[4:5]
	s_cbranch_execz .LBB2_396
; %bb.394:
	v_mov_b32_e32 v7, 0
	global_load_dwordx2 v[0:1], v7, s[8:9] offset:40
	global_load_dwordx2 v[10:11], v7, s[8:9] offset:24 glc
	global_load_dwordx2 v[3:4], v7, s[8:9]
	s_waitcnt vmcnt(2)
	v_readfirstlane_b32 s14, v0
	v_readfirstlane_b32 s15, v1
	s_add_u32 s16, s14, 1
	s_addc_u32 s17, s15, 0
	s_add_u32 s4, s16, s10
	s_addc_u32 s5, s17, s11
	s_cmp_eq_u64 s[4:5], 0
	s_cselect_b32 s5, s17, s5
	s_cselect_b32 s4, s16, s4
	s_and_b64 s[10:11], s[4:5], s[14:15]
	s_mul_i32 s11, s11, 24
	s_mul_hi_u32 s14, s10, 24
	s_mul_i32 s10, s10, 24
	s_add_i32 s11, s14, s11
	v_mov_b32_e32 v1, s11
	s_waitcnt vmcnt(0)
	v_add_co_u32_e32 v0, vcc, s10, v3
	v_addc_co_u32_e32 v1, vcc, v4, v1, vcc
	v_mov_b32_e32 v8, s4
	global_store_dwordx2 v[0:1], v[10:11], off
	v_mov_b32_e32 v9, s5
	s_waitcnt vmcnt(0)
	global_atomic_cmpswap_x2 v[5:6], v7, v[8:11], s[8:9] offset:24 glc
	s_mov_b64 s[10:11], 0
	s_waitcnt vmcnt(0)
	v_cmp_ne_u64_e32 vcc, v[5:6], v[10:11]
	s_and_b64 exec, exec, vcc
	s_cbranch_execz .LBB2_396
.LBB2_395:                              ; =>This Inner Loop Header: Depth=1
	s_sleep 1
	global_store_dwordx2 v[0:1], v[5:6], off
	v_mov_b32_e32 v3, s4
	v_mov_b32_e32 v4, s5
	s_waitcnt vmcnt(0)
	global_atomic_cmpswap_x2 v[3:4], v7, v[3:6], s[8:9] offset:24 glc
	s_waitcnt vmcnt(0)
	v_cmp_eq_u64_e32 vcc, v[3:4], v[5:6]
	v_mov_b32_e32 v6, v4
	s_or_b64 s[10:11], vcc, s[10:11]
	v_mov_b32_e32 v5, v3
	s_andn2_b64 exec, exec, s[10:11]
	s_cbranch_execnz .LBB2_395
.LBB2_396:
	s_or_b64 exec, exec, s[12:13]
	v_lshrrev_b32_e32 v0, 1, v29
	v_and_b32_e32 v0, 0x7ffffffc, v0
	global_store_dword v0, v2, s[6:7]
.LBB2_397:
	s_endpgm
.LBB2_398:
	s_cbranch_execz .LBB2_201
	s_branch .LBB2_202
	.section	.rodata,"a",@progbits
	.p2align	6, 0x0
	.amdhsa_kernel _ZL32kernel_cg_group_partition_staticILj8EEvPi19TiledGroupShflTests
		.amdhsa_group_segment_fixed_size 0
		.amdhsa_private_segment_fixed_size 12
		.amdhsa_kernarg_size 272
		.amdhsa_user_sgpr_count 8
		.amdhsa_user_sgpr_private_segment_buffer 1
		.amdhsa_user_sgpr_dispatch_ptr 0
		.amdhsa_user_sgpr_queue_ptr 0
		.amdhsa_user_sgpr_kernarg_segment_ptr 1
		.amdhsa_user_sgpr_dispatch_id 0
		.amdhsa_user_sgpr_flat_scratch_init 1
		.amdhsa_user_sgpr_private_segment_size 0
		.amdhsa_uses_dynamic_stack 0
		.amdhsa_system_sgpr_private_segment_wavefront_offset 1
		.amdhsa_system_sgpr_workgroup_id_x 1
		.amdhsa_system_sgpr_workgroup_id_y 0
		.amdhsa_system_sgpr_workgroup_id_z 0
		.amdhsa_system_sgpr_workgroup_info 0
		.amdhsa_system_vgpr_workitem_id 2
		.amdhsa_next_free_vgpr 35
		.amdhsa_next_free_sgpr 32
		.amdhsa_reserve_vcc 1
		.amdhsa_reserve_flat_scratch 1
		.amdhsa_float_round_mode_32 0
		.amdhsa_float_round_mode_16_64 0
		.amdhsa_float_denorm_mode_32 3
		.amdhsa_float_denorm_mode_16_64 3
		.amdhsa_dx10_clamp 1
		.amdhsa_ieee_mode 1
		.amdhsa_fp16_overflow 0
		.amdhsa_exception_fp_ieee_invalid_op 0
		.amdhsa_exception_fp_denorm_src 0
		.amdhsa_exception_fp_ieee_div_zero 0
		.amdhsa_exception_fp_ieee_overflow 0
		.amdhsa_exception_fp_ieee_underflow 0
		.amdhsa_exception_fp_ieee_inexact 0
		.amdhsa_exception_int_div_zero 0
	.end_amdhsa_kernel
	.section	.text._ZL32kernel_cg_group_partition_staticILj8EEvPi19TiledGroupShflTests,"axG",@progbits,_ZL32kernel_cg_group_partition_staticILj8EEvPi19TiledGroupShflTests,comdat
.Lfunc_end2:
	.size	_ZL32kernel_cg_group_partition_staticILj8EEvPi19TiledGroupShflTests, .Lfunc_end2-_ZL32kernel_cg_group_partition_staticILj8EEvPi19TiledGroupShflTests
                                        ; -- End function
	.set _ZL32kernel_cg_group_partition_staticILj8EEvPi19TiledGroupShflTests.num_vgpr, 35
	.set _ZL32kernel_cg_group_partition_staticILj8EEvPi19TiledGroupShflTests.num_agpr, 0
	.set _ZL32kernel_cg_group_partition_staticILj8EEvPi19TiledGroupShflTests.numbered_sgpr, 32
	.set _ZL32kernel_cg_group_partition_staticILj8EEvPi19TiledGroupShflTests.num_named_barrier, 0
	.set _ZL32kernel_cg_group_partition_staticILj8EEvPi19TiledGroupShflTests.private_seg_size, 12
	.set _ZL32kernel_cg_group_partition_staticILj8EEvPi19TiledGroupShflTests.uses_vcc, 1
	.set _ZL32kernel_cg_group_partition_staticILj8EEvPi19TiledGroupShflTests.uses_flat_scratch, 1
	.set _ZL32kernel_cg_group_partition_staticILj8EEvPi19TiledGroupShflTests.has_dyn_sized_stack, 0
	.set _ZL32kernel_cg_group_partition_staticILj8EEvPi19TiledGroupShflTests.has_recursion, 0
	.set _ZL32kernel_cg_group_partition_staticILj8EEvPi19TiledGroupShflTests.has_indirect_call, 0
	.section	.AMDGPU.csdata,"",@progbits
; Kernel info:
; codeLenInByte = 14932
; TotalNumSgprs: 38
; NumVgprs: 35
; ScratchSize: 12
; MemoryBound: 0
; FloatMode: 240
; IeeeMode: 1
; LDSByteSize: 0 bytes/workgroup (compile time only)
; SGPRBlocks: 4
; VGPRBlocks: 8
; NumSGPRsForWavesPerEU: 38
; NumVGPRsForWavesPerEU: 35
; Occupancy: 7
; WaveLimiterHint : 1
; COMPUTE_PGM_RSRC2:SCRATCH_EN: 1
; COMPUTE_PGM_RSRC2:USER_SGPR: 8
; COMPUTE_PGM_RSRC2:TRAP_HANDLER: 0
; COMPUTE_PGM_RSRC2:TGID_X_EN: 1
; COMPUTE_PGM_RSRC2:TGID_Y_EN: 0
; COMPUTE_PGM_RSRC2:TGID_Z_EN: 0
; COMPUTE_PGM_RSRC2:TIDIG_COMP_CNT: 2
	.section	.text._ZL32kernel_cg_group_partition_staticILj16EEvPi19TiledGroupShflTests,"axG",@progbits,_ZL32kernel_cg_group_partition_staticILj16EEvPi19TiledGroupShflTests,comdat
	.globl	_ZL32kernel_cg_group_partition_staticILj16EEvPi19TiledGroupShflTests ; -- Begin function _ZL32kernel_cg_group_partition_staticILj16EEvPi19TiledGroupShflTests
	.p2align	8
	.type	_ZL32kernel_cg_group_partition_staticILj16EEvPi19TiledGroupShflTests,@function
_ZL32kernel_cg_group_partition_staticILj16EEvPi19TiledGroupShflTests: ; @_ZL32kernel_cg_group_partition_staticILj16EEvPi19TiledGroupShflTests
; %bb.0:
	s_add_u32 flat_scratch_lo, s6, s9
	s_load_dword s6, s[4:5], 0x1c
	s_addc_u32 flat_scratch_hi, s7, 0
	s_add_u32 s0, s0, s9
	s_addc_u32 s1, s1, 0
	s_add_u32 s8, s4, 16
	s_addc_u32 s9, s5, 0
	s_waitcnt lgkmcnt(0)
	s_lshr_b32 s28, s6, 16
	s_and_b32 s29, s6, 0xffff
	v_mad_u32_u24 v1, v2, s28, v1
	v_mad_u64_u32 v[29:30], s[6:7], v1, s29, v[0:1]
	v_cmp_eq_u32_e32 vcc, 0, v29
	s_and_saveexec_b64 s[10:11], vcc
	s_cbranch_execz .LBB3_189
; %bb.1:
	s_load_dword s30, s[8:9], 0x10
	s_load_dwordx2 s[12:13], s[8:9], 0x50
	v_mbcnt_lo_u32_b32 v0, -1, 0
	v_mbcnt_hi_u32_b32 v31, -1, v0
	v_readfirstlane_b32 s6, v31
	v_mov_b32_e32 v5, 0
	v_mov_b32_e32 v6, 0
	v_cmp_eq_u32_e64 s[6:7], s6, v31
	s_and_saveexec_b64 s[14:15], s[6:7]
	s_cbranch_execz .LBB3_7
; %bb.2:
	v_mov_b32_e32 v0, 0
	s_waitcnt lgkmcnt(0)
	global_load_dwordx2 v[3:4], v0, s[12:13] offset:24 glc
	s_waitcnt vmcnt(0)
	buffer_wbinvl1_vol
	global_load_dwordx2 v[1:2], v0, s[12:13] offset:40
	global_load_dwordx2 v[5:6], v0, s[12:13]
	s_waitcnt vmcnt(1)
	v_and_b32_e32 v1, v1, v3
	v_and_b32_e32 v2, v2, v4
	v_mul_lo_u32 v2, v2, 24
	v_mul_hi_u32 v7, v1, 24
	v_mul_lo_u32 v1, v1, 24
	v_add_u32_e32 v2, v7, v2
	s_waitcnt vmcnt(0)
	v_add_co_u32_e32 v1, vcc, v5, v1
	v_addc_co_u32_e32 v2, vcc, v6, v2, vcc
	global_load_dwordx2 v[1:2], v[1:2], off glc
	s_waitcnt vmcnt(0)
	global_atomic_cmpswap_x2 v[5:6], v0, v[1:4], s[12:13] offset:24 glc
	s_waitcnt vmcnt(0)
	buffer_wbinvl1_vol
	v_cmp_ne_u64_e32 vcc, v[5:6], v[3:4]
	s_and_saveexec_b64 s[16:17], vcc
	s_cbranch_execz .LBB3_6
; %bb.3:
	s_mov_b64 s[18:19], 0
.LBB3_4:                                ; =>This Inner Loop Header: Depth=1
	s_sleep 1
	global_load_dwordx2 v[1:2], v0, s[12:13] offset:40
	global_load_dwordx2 v[7:8], v0, s[12:13]
	v_mov_b32_e32 v3, v5
	v_mov_b32_e32 v4, v6
	s_waitcnt vmcnt(1)
	v_and_b32_e32 v1, v1, v3
	s_waitcnt vmcnt(0)
	v_mad_u64_u32 v[5:6], s[20:21], v1, 24, v[7:8]
	v_and_b32_e32 v2, v2, v4
	v_mov_b32_e32 v1, v6
	v_mad_u64_u32 v[1:2], s[20:21], v2, 24, v[1:2]
	v_mov_b32_e32 v6, v1
	global_load_dwordx2 v[1:2], v[5:6], off glc
	s_waitcnt vmcnt(0)
	global_atomic_cmpswap_x2 v[5:6], v0, v[1:4], s[12:13] offset:24 glc
	s_waitcnt vmcnt(0)
	buffer_wbinvl1_vol
	v_cmp_eq_u64_e32 vcc, v[5:6], v[3:4]
	s_or_b64 s[18:19], vcc, s[18:19]
	s_andn2_b64 exec, exec, s[18:19]
	s_cbranch_execnz .LBB3_4
; %bb.5:
	s_or_b64 exec, exec, s[18:19]
.LBB3_6:
	s_or_b64 exec, exec, s[16:17]
.LBB3_7:
	s_or_b64 exec, exec, s[14:15]
	v_mov_b32_e32 v4, 0
	s_waitcnt lgkmcnt(0)
	global_load_dwordx2 v[7:8], v4, s[12:13] offset:40
	global_load_dwordx4 v[0:3], v4, s[12:13]
	v_readfirstlane_b32 s15, v6
	v_readfirstlane_b32 s14, v5
	s_mov_b64 s[16:17], exec
	s_waitcnt vmcnt(1)
	v_readfirstlane_b32 s18, v7
	v_readfirstlane_b32 s19, v8
	s_and_b64 s[18:19], s[18:19], s[14:15]
	s_mul_i32 s20, s19, 24
	s_mul_hi_u32 s21, s18, 24
	s_mul_i32 s22, s18, 24
	s_add_i32 s20, s21, s20
	v_mov_b32_e32 v5, s20
	s_waitcnt vmcnt(0)
	v_add_co_u32_e32 v7, vcc, s22, v0
	v_addc_co_u32_e32 v8, vcc, v1, v5, vcc
	s_and_saveexec_b64 s[20:21], s[6:7]
	s_cbranch_execz .LBB3_9
; %bb.8:
	v_mov_b32_e32 v9, s16
	v_mov_b32_e32 v10, s17
	;; [unrolled: 1-line block ×4, first 2 shown]
	global_store_dwordx4 v[7:8], v[9:12], off offset:8
.LBB3_9:
	s_or_b64 exec, exec, s[20:21]
	s_lshl_b64 s[16:17], s[18:19], 12
	v_mov_b32_e32 v5, s17
	v_add_co_u32_e32 v2, vcc, s16, v2
	v_addc_co_u32_e32 v11, vcc, v3, v5, vcc
	v_lshlrev_b32_e32 v30, 6, v31
	s_mov_b32 s16, 0
	v_mov_b32_e32 v3, 33
	v_mov_b32_e32 v5, v4
	;; [unrolled: 1-line block ×3, first 2 shown]
	v_readfirstlane_b32 s20, v2
	v_readfirstlane_b32 s21, v11
	v_add_co_u32_e32 v9, vcc, v2, v30
	s_mov_b32 s17, s16
	s_mov_b32 s18, s16
	;; [unrolled: 1-line block ×3, first 2 shown]
	s_nop 0
	global_store_dwordx4 v30, v[3:6], s[20:21]
	v_mov_b32_e32 v2, s16
	v_addc_co_u32_e32 v10, vcc, 0, v11, vcc
	v_mov_b32_e32 v3, s17
	v_mov_b32_e32 v4, s18
	;; [unrolled: 1-line block ×3, first 2 shown]
	global_store_dwordx4 v30, v[2:5], s[20:21] offset:16
	global_store_dwordx4 v30, v[2:5], s[20:21] offset:32
	global_store_dwordx4 v30, v[2:5], s[20:21] offset:48
	s_and_saveexec_b64 s[16:17], s[6:7]
	s_cbranch_execz .LBB3_17
; %bb.10:
	v_mov_b32_e32 v6, 0
	global_load_dwordx2 v[13:14], v6, s[12:13] offset:32 glc
	global_load_dwordx2 v[2:3], v6, s[12:13] offset:40
	v_mov_b32_e32 v11, s14
	v_mov_b32_e32 v12, s15
	s_waitcnt vmcnt(0)
	v_and_b32_e32 v2, s14, v2
	v_and_b32_e32 v3, s15, v3
	v_mul_lo_u32 v3, v3, 24
	v_mul_hi_u32 v4, v2, 24
	v_mul_lo_u32 v2, v2, 24
	v_add_u32_e32 v3, v4, v3
	v_add_co_u32_e32 v4, vcc, v0, v2
	v_addc_co_u32_e32 v5, vcc, v1, v3, vcc
	global_store_dwordx2 v[4:5], v[13:14], off
	s_waitcnt vmcnt(0)
	global_atomic_cmpswap_x2 v[2:3], v6, v[11:14], s[12:13] offset:32 glc
	s_waitcnt vmcnt(0)
	v_cmp_ne_u64_e32 vcc, v[2:3], v[13:14]
	s_and_saveexec_b64 s[18:19], vcc
	s_cbranch_execz .LBB3_13
; %bb.11:
	s_mov_b64 s[20:21], 0
.LBB3_12:                               ; =>This Inner Loop Header: Depth=1
	s_sleep 1
	global_store_dwordx2 v[4:5], v[2:3], off
	v_mov_b32_e32 v0, s14
	v_mov_b32_e32 v1, s15
	s_waitcnt vmcnt(0)
	global_atomic_cmpswap_x2 v[0:1], v6, v[0:3], s[12:13] offset:32 glc
	s_waitcnt vmcnt(0)
	v_cmp_eq_u64_e32 vcc, v[0:1], v[2:3]
	v_mov_b32_e32 v3, v1
	s_or_b64 s[20:21], vcc, s[20:21]
	v_mov_b32_e32 v2, v0
	s_andn2_b64 exec, exec, s[20:21]
	s_cbranch_execnz .LBB3_12
.LBB3_13:
	s_or_b64 exec, exec, s[18:19]
	v_mov_b32_e32 v3, 0
	global_load_dwordx2 v[0:1], v3, s[12:13] offset:16
	s_mov_b64 s[18:19], exec
	v_mbcnt_lo_u32_b32 v2, s18, 0
	v_mbcnt_hi_u32_b32 v2, s19, v2
	v_cmp_eq_u32_e32 vcc, 0, v2
	s_and_saveexec_b64 s[20:21], vcc
	s_cbranch_execz .LBB3_15
; %bb.14:
	s_bcnt1_i32_b64 s18, s[18:19]
	v_mov_b32_e32 v2, s18
	s_waitcnt vmcnt(0)
	global_atomic_add_x2 v[0:1], v[2:3], off offset:8
.LBB3_15:
	s_or_b64 exec, exec, s[20:21]
	s_waitcnt vmcnt(0)
	global_load_dwordx2 v[2:3], v[0:1], off offset:16
	s_waitcnt vmcnt(0)
	v_cmp_eq_u64_e32 vcc, 0, v[2:3]
	s_cbranch_vccnz .LBB3_17
; %bb.16:
	global_load_dword v0, v[0:1], off offset:24
	v_mov_b32_e32 v1, 0
	s_waitcnt vmcnt(0)
	v_readfirstlane_b32 s18, v0
	s_and_b32 m0, s18, 0xffffff
	global_store_dwordx2 v[2:3], v[0:1], off
	s_sendmsg sendmsg(MSG_INTERRUPT)
.LBB3_17:
	s_or_b64 exec, exec, s[16:17]
	s_branch .LBB3_21
.LBB3_18:                               ;   in Loop: Header=BB3_21 Depth=1
	s_or_b64 exec, exec, s[16:17]
	v_readfirstlane_b32 s16, v0
	s_cmp_eq_u32 s16, 0
	s_cbranch_scc1 .LBB3_20
; %bb.19:                               ;   in Loop: Header=BB3_21 Depth=1
	s_sleep 1
	s_cbranch_execnz .LBB3_21
	s_branch .LBB3_23
.LBB3_20:
	s_branch .LBB3_23
.LBB3_21:                               ; =>This Inner Loop Header: Depth=1
	v_mov_b32_e32 v0, 1
	s_and_saveexec_b64 s[16:17], s[6:7]
	s_cbranch_execz .LBB3_18
; %bb.22:                               ;   in Loop: Header=BB3_21 Depth=1
	global_load_dword v0, v[7:8], off offset:20 glc
	s_waitcnt vmcnt(0)
	buffer_wbinvl1_vol
	v_and_b32_e32 v0, 1, v0
	s_branch .LBB3_18
.LBB3_23:
	global_load_dwordx2 v[0:1], v[9:10], off
	s_and_saveexec_b64 s[16:17], s[6:7]
	s_cbranch_execz .LBB3_26
; %bb.24:
	v_mov_b32_e32 v8, 0
	global_load_dwordx2 v[2:3], v8, s[12:13] offset:40
	global_load_dwordx2 v[11:12], v8, s[12:13] offset:24 glc
	global_load_dwordx2 v[4:5], v8, s[12:13]
	s_waitcnt vmcnt(2)
	v_readfirstlane_b32 s18, v2
	v_readfirstlane_b32 s19, v3
	s_add_u32 s20, s18, 1
	s_addc_u32 s21, s19, 0
	s_add_u32 s6, s20, s14
	s_addc_u32 s7, s21, s15
	s_cmp_eq_u64 s[6:7], 0
	s_cselect_b32 s7, s21, s7
	s_cselect_b32 s6, s20, s6
	s_and_b64 s[14:15], s[6:7], s[18:19]
	s_mul_i32 s15, s15, 24
	s_mul_hi_u32 s18, s14, 24
	s_mul_i32 s14, s14, 24
	s_add_i32 s15, s18, s15
	v_mov_b32_e32 v2, s15
	s_waitcnt vmcnt(0)
	v_add_co_u32_e32 v6, vcc, s14, v4
	v_addc_co_u32_e32 v7, vcc, v5, v2, vcc
	v_mov_b32_e32 v9, s6
	global_store_dwordx2 v[6:7], v[11:12], off
	v_mov_b32_e32 v10, s7
	s_waitcnt vmcnt(0)
	global_atomic_cmpswap_x2 v[4:5], v8, v[9:12], s[12:13] offset:24 glc
	s_mov_b64 s[14:15], 0
	s_waitcnt vmcnt(0)
	v_cmp_ne_u64_e32 vcc, v[4:5], v[11:12]
	s_and_b64 exec, exec, vcc
	s_cbranch_execz .LBB3_26
.LBB3_25:                               ; =>This Inner Loop Header: Depth=1
	s_sleep 1
	global_store_dwordx2 v[6:7], v[4:5], off
	v_mov_b32_e32 v2, s6
	v_mov_b32_e32 v3, s7
	s_waitcnt vmcnt(0)
	global_atomic_cmpswap_x2 v[2:3], v8, v[2:5], s[12:13] offset:24 glc
	s_waitcnt vmcnt(0)
	v_cmp_eq_u64_e32 vcc, v[2:3], v[4:5]
	v_mov_b32_e32 v5, v3
	s_or_b64 s[14:15], vcc, s[14:15]
	v_mov_b32_e32 v4, v2
	s_andn2_b64 exec, exec, s[14:15]
	s_cbranch_execnz .LBB3_25
.LBB3_26:
	s_or_b64 exec, exec, s[16:17]
	s_getpc_b64 s[14:15]
	s_add_u32 s14, s14, .str@rel32@lo+4
	s_addc_u32 s15, s15, .str@rel32@hi+12
	s_cmp_lg_u64 s[14:15], 0
	s_cbranch_scc0 .LBB3_112
; %bb.27:
	s_waitcnt vmcnt(0)
	v_and_b32_e32 v32, 2, v0
	v_mov_b32_e32 v26, 0
	v_and_b32_e32 v2, -3, v0
	v_mov_b32_e32 v3, v1
	s_mov_b64 s[16:17], 48
	v_mov_b32_e32 v8, 2
	v_mov_b32_e32 v9, 1
	s_branch .LBB3_29
.LBB3_28:                               ;   in Loop: Header=BB3_29 Depth=1
	s_or_b64 exec, exec, s[22:23]
	s_sub_u32 s16, s16, s18
	s_subb_u32 s17, s17, s19
	s_add_u32 s14, s14, s18
	s_addc_u32 s15, s15, s19
	s_cmp_lg_u64 s[16:17], 0
	s_cbranch_scc0 .LBB3_111
.LBB3_29:                               ; =>This Loop Header: Depth=1
                                        ;     Child Loop BB3_32 Depth 2
                                        ;     Child Loop BB3_40 Depth 2
	;; [unrolled: 1-line block ×11, first 2 shown]
	v_cmp_lt_u64_e64 s[6:7], s[16:17], 56
	v_cmp_gt_u64_e64 s[20:21], s[16:17], 7
	s_and_b64 s[6:7], s[6:7], exec
	s_cselect_b32 s19, s17, 0
	s_cselect_b32 s18, s16, 56
	s_add_u32 s6, s14, 8
	s_addc_u32 s7, s15, 0
	s_and_b64 vcc, exec, s[20:21]
	s_cbranch_vccnz .LBB3_33
; %bb.30:                               ;   in Loop: Header=BB3_29 Depth=1
	s_cmp_eq_u64 s[16:17], 0
	s_cbranch_scc1 .LBB3_34
; %bb.31:                               ;   in Loop: Header=BB3_29 Depth=1
	v_mov_b32_e32 v4, 0
	s_lshl_b64 s[6:7], s[18:19], 3
	s_mov_b64 s[20:21], 0
	v_mov_b32_e32 v5, 0
	s_mov_b64 s[22:23], s[14:15]
.LBB3_32:                               ;   Parent Loop BB3_29 Depth=1
                                        ; =>  This Inner Loop Header: Depth=2
	global_load_ubyte v6, v26, s[22:23]
	s_waitcnt vmcnt(0)
	v_and_b32_e32 v25, 0xffff, v6
	v_lshlrev_b64 v[6:7], s20, v[25:26]
	s_add_u32 s20, s20, 8
	s_addc_u32 s21, s21, 0
	s_add_u32 s22, s22, 1
	s_addc_u32 s23, s23, 0
	v_or_b32_e32 v4, v6, v4
	s_cmp_lg_u32 s6, s20
	v_or_b32_e32 v5, v7, v5
	s_cbranch_scc1 .LBB3_32
	s_branch .LBB3_35
.LBB3_33:                               ;   in Loop: Header=BB3_29 Depth=1
	s_mov_b32 s24, 0
	s_branch .LBB3_36
.LBB3_34:                               ;   in Loop: Header=BB3_29 Depth=1
	v_mov_b32_e32 v4, 0
	v_mov_b32_e32 v5, 0
.LBB3_35:                               ;   in Loop: Header=BB3_29 Depth=1
	s_mov_b64 s[6:7], s[14:15]
	s_mov_b32 s24, 0
	s_cbranch_execnz .LBB3_37
.LBB3_36:                               ;   in Loop: Header=BB3_29 Depth=1
	global_load_dwordx2 v[4:5], v26, s[14:15]
	s_add_i32 s24, s18, -8
.LBB3_37:                               ;   in Loop: Header=BB3_29 Depth=1
	s_add_u32 s20, s6, 8
	s_addc_u32 s21, s7, 0
	s_cmp_gt_u32 s24, 7
	s_cbranch_scc1 .LBB3_41
; %bb.38:                               ;   in Loop: Header=BB3_29 Depth=1
	s_cmp_eq_u32 s24, 0
	s_cbranch_scc1 .LBB3_42
; %bb.39:                               ;   in Loop: Header=BB3_29 Depth=1
	v_mov_b32_e32 v10, 0
	s_mov_b64 s[20:21], 0
	v_mov_b32_e32 v11, 0
	s_mov_b64 s[22:23], 0
.LBB3_40:                               ;   Parent Loop BB3_29 Depth=1
                                        ; =>  This Inner Loop Header: Depth=2
	s_add_u32 s26, s6, s22
	s_addc_u32 s27, s7, s23
	global_load_ubyte v6, v26, s[26:27]
	s_add_u32 s22, s22, 1
	s_addc_u32 s23, s23, 0
	s_waitcnt vmcnt(0)
	v_and_b32_e32 v25, 0xffff, v6
	v_lshlrev_b64 v[6:7], s20, v[25:26]
	s_add_u32 s20, s20, 8
	s_addc_u32 s21, s21, 0
	v_or_b32_e32 v10, v6, v10
	s_cmp_lg_u32 s24, s22
	v_or_b32_e32 v11, v7, v11
	s_cbranch_scc1 .LBB3_40
	s_branch .LBB3_43
.LBB3_41:                               ;   in Loop: Header=BB3_29 Depth=1
                                        ; implicit-def: $vgpr10_vgpr11
	s_mov_b32 s25, 0
	s_branch .LBB3_44
.LBB3_42:                               ;   in Loop: Header=BB3_29 Depth=1
	v_mov_b32_e32 v10, 0
	v_mov_b32_e32 v11, 0
.LBB3_43:                               ;   in Loop: Header=BB3_29 Depth=1
	s_mov_b64 s[20:21], s[6:7]
	s_mov_b32 s25, 0
	s_cbranch_execnz .LBB3_45
.LBB3_44:                               ;   in Loop: Header=BB3_29 Depth=1
	global_load_dwordx2 v[10:11], v26, s[6:7]
	s_add_i32 s25, s24, -8
.LBB3_45:                               ;   in Loop: Header=BB3_29 Depth=1
	s_add_u32 s6, s20, 8
	s_addc_u32 s7, s21, 0
	s_cmp_gt_u32 s25, 7
	s_cbranch_scc1 .LBB3_49
; %bb.46:                               ;   in Loop: Header=BB3_29 Depth=1
	s_cmp_eq_u32 s25, 0
	s_cbranch_scc1 .LBB3_50
; %bb.47:                               ;   in Loop: Header=BB3_29 Depth=1
	v_mov_b32_e32 v12, 0
	s_mov_b64 s[6:7], 0
	v_mov_b32_e32 v13, 0
	s_mov_b64 s[22:23], 0
.LBB3_48:                               ;   Parent Loop BB3_29 Depth=1
                                        ; =>  This Inner Loop Header: Depth=2
	s_add_u32 s26, s20, s22
	s_addc_u32 s27, s21, s23
	global_load_ubyte v6, v26, s[26:27]
	s_add_u32 s22, s22, 1
	s_addc_u32 s23, s23, 0
	s_waitcnt vmcnt(0)
	v_and_b32_e32 v25, 0xffff, v6
	v_lshlrev_b64 v[6:7], s6, v[25:26]
	s_add_u32 s6, s6, 8
	s_addc_u32 s7, s7, 0
	v_or_b32_e32 v12, v6, v12
	s_cmp_lg_u32 s25, s22
	v_or_b32_e32 v13, v7, v13
	s_cbranch_scc1 .LBB3_48
	s_branch .LBB3_51
.LBB3_49:                               ;   in Loop: Header=BB3_29 Depth=1
	s_mov_b32 s24, 0
	s_branch .LBB3_52
.LBB3_50:                               ;   in Loop: Header=BB3_29 Depth=1
	v_mov_b32_e32 v12, 0
	v_mov_b32_e32 v13, 0
.LBB3_51:                               ;   in Loop: Header=BB3_29 Depth=1
	s_mov_b64 s[6:7], s[20:21]
	s_mov_b32 s24, 0
	s_cbranch_execnz .LBB3_53
.LBB3_52:                               ;   in Loop: Header=BB3_29 Depth=1
	global_load_dwordx2 v[12:13], v26, s[20:21]
	s_add_i32 s24, s25, -8
.LBB3_53:                               ;   in Loop: Header=BB3_29 Depth=1
	s_add_u32 s20, s6, 8
	s_addc_u32 s21, s7, 0
	s_cmp_gt_u32 s24, 7
	s_cbranch_scc1 .LBB3_57
; %bb.54:                               ;   in Loop: Header=BB3_29 Depth=1
	s_cmp_eq_u32 s24, 0
	s_cbranch_scc1 .LBB3_58
; %bb.55:                               ;   in Loop: Header=BB3_29 Depth=1
	v_mov_b32_e32 v14, 0
	s_mov_b64 s[20:21], 0
	v_mov_b32_e32 v15, 0
	s_mov_b64 s[22:23], 0
.LBB3_56:                               ;   Parent Loop BB3_29 Depth=1
                                        ; =>  This Inner Loop Header: Depth=2
	s_add_u32 s26, s6, s22
	s_addc_u32 s27, s7, s23
	global_load_ubyte v6, v26, s[26:27]
	s_add_u32 s22, s22, 1
	s_addc_u32 s23, s23, 0
	s_waitcnt vmcnt(0)
	v_and_b32_e32 v25, 0xffff, v6
	v_lshlrev_b64 v[6:7], s20, v[25:26]
	s_add_u32 s20, s20, 8
	s_addc_u32 s21, s21, 0
	v_or_b32_e32 v14, v6, v14
	s_cmp_lg_u32 s24, s22
	v_or_b32_e32 v15, v7, v15
	s_cbranch_scc1 .LBB3_56
	s_branch .LBB3_59
.LBB3_57:                               ;   in Loop: Header=BB3_29 Depth=1
                                        ; implicit-def: $vgpr14_vgpr15
	s_mov_b32 s25, 0
	s_branch .LBB3_60
.LBB3_58:                               ;   in Loop: Header=BB3_29 Depth=1
	v_mov_b32_e32 v14, 0
	v_mov_b32_e32 v15, 0
.LBB3_59:                               ;   in Loop: Header=BB3_29 Depth=1
	s_mov_b64 s[20:21], s[6:7]
	s_mov_b32 s25, 0
	s_cbranch_execnz .LBB3_61
.LBB3_60:                               ;   in Loop: Header=BB3_29 Depth=1
	global_load_dwordx2 v[14:15], v26, s[6:7]
	s_add_i32 s25, s24, -8
.LBB3_61:                               ;   in Loop: Header=BB3_29 Depth=1
	s_add_u32 s6, s20, 8
	s_addc_u32 s7, s21, 0
	s_cmp_gt_u32 s25, 7
	s_cbranch_scc1 .LBB3_65
; %bb.62:                               ;   in Loop: Header=BB3_29 Depth=1
	s_cmp_eq_u32 s25, 0
	s_cbranch_scc1 .LBB3_66
; %bb.63:                               ;   in Loop: Header=BB3_29 Depth=1
	v_mov_b32_e32 v16, 0
	s_mov_b64 s[6:7], 0
	v_mov_b32_e32 v17, 0
	s_mov_b64 s[22:23], 0
.LBB3_64:                               ;   Parent Loop BB3_29 Depth=1
                                        ; =>  This Inner Loop Header: Depth=2
	s_add_u32 s26, s20, s22
	s_addc_u32 s27, s21, s23
	global_load_ubyte v6, v26, s[26:27]
	s_add_u32 s22, s22, 1
	s_addc_u32 s23, s23, 0
	s_waitcnt vmcnt(0)
	v_and_b32_e32 v25, 0xffff, v6
	v_lshlrev_b64 v[6:7], s6, v[25:26]
	s_add_u32 s6, s6, 8
	s_addc_u32 s7, s7, 0
	v_or_b32_e32 v16, v6, v16
	s_cmp_lg_u32 s25, s22
	v_or_b32_e32 v17, v7, v17
	s_cbranch_scc1 .LBB3_64
	s_branch .LBB3_67
.LBB3_65:                               ;   in Loop: Header=BB3_29 Depth=1
	s_mov_b32 s24, 0
	s_branch .LBB3_68
.LBB3_66:                               ;   in Loop: Header=BB3_29 Depth=1
	v_mov_b32_e32 v16, 0
	v_mov_b32_e32 v17, 0
.LBB3_67:                               ;   in Loop: Header=BB3_29 Depth=1
	s_mov_b64 s[6:7], s[20:21]
	s_mov_b32 s24, 0
	s_cbranch_execnz .LBB3_69
.LBB3_68:                               ;   in Loop: Header=BB3_29 Depth=1
	global_load_dwordx2 v[16:17], v26, s[20:21]
	s_add_i32 s24, s25, -8
.LBB3_69:                               ;   in Loop: Header=BB3_29 Depth=1
	s_add_u32 s20, s6, 8
	s_addc_u32 s21, s7, 0
	s_cmp_gt_u32 s24, 7
	s_cbranch_scc1 .LBB3_73
; %bb.70:                               ;   in Loop: Header=BB3_29 Depth=1
	s_cmp_eq_u32 s24, 0
	s_cbranch_scc1 .LBB3_74
; %bb.71:                               ;   in Loop: Header=BB3_29 Depth=1
	v_mov_b32_e32 v18, 0
	s_mov_b64 s[20:21], 0
	v_mov_b32_e32 v19, 0
	s_mov_b64 s[22:23], 0
.LBB3_72:                               ;   Parent Loop BB3_29 Depth=1
                                        ; =>  This Inner Loop Header: Depth=2
	s_add_u32 s26, s6, s22
	s_addc_u32 s27, s7, s23
	global_load_ubyte v6, v26, s[26:27]
	s_add_u32 s22, s22, 1
	s_addc_u32 s23, s23, 0
	s_waitcnt vmcnt(0)
	v_and_b32_e32 v25, 0xffff, v6
	v_lshlrev_b64 v[6:7], s20, v[25:26]
	s_add_u32 s20, s20, 8
	s_addc_u32 s21, s21, 0
	v_or_b32_e32 v18, v6, v18
	s_cmp_lg_u32 s24, s22
	v_or_b32_e32 v19, v7, v19
	s_cbranch_scc1 .LBB3_72
	s_branch .LBB3_75
.LBB3_73:                               ;   in Loop: Header=BB3_29 Depth=1
                                        ; implicit-def: $vgpr18_vgpr19
	s_mov_b32 s25, 0
	s_branch .LBB3_76
.LBB3_74:                               ;   in Loop: Header=BB3_29 Depth=1
	v_mov_b32_e32 v18, 0
	v_mov_b32_e32 v19, 0
.LBB3_75:                               ;   in Loop: Header=BB3_29 Depth=1
	s_mov_b64 s[20:21], s[6:7]
	s_mov_b32 s25, 0
	s_cbranch_execnz .LBB3_77
.LBB3_76:                               ;   in Loop: Header=BB3_29 Depth=1
	global_load_dwordx2 v[18:19], v26, s[6:7]
	s_add_i32 s25, s24, -8
.LBB3_77:                               ;   in Loop: Header=BB3_29 Depth=1
	s_cmp_gt_u32 s25, 7
	s_cbranch_scc1 .LBB3_81
; %bb.78:                               ;   in Loop: Header=BB3_29 Depth=1
	s_cmp_eq_u32 s25, 0
	s_cbranch_scc1 .LBB3_82
; %bb.79:                               ;   in Loop: Header=BB3_29 Depth=1
	v_mov_b32_e32 v20, 0
	s_mov_b64 s[6:7], 0
	v_mov_b32_e32 v21, 0
	s_mov_b64 s[22:23], s[20:21]
.LBB3_80:                               ;   Parent Loop BB3_29 Depth=1
                                        ; =>  This Inner Loop Header: Depth=2
	global_load_ubyte v6, v26, s[22:23]
	s_add_i32 s25, s25, -1
	s_waitcnt vmcnt(0)
	v_and_b32_e32 v25, 0xffff, v6
	v_lshlrev_b64 v[6:7], s6, v[25:26]
	s_add_u32 s6, s6, 8
	s_addc_u32 s7, s7, 0
	s_add_u32 s22, s22, 1
	s_addc_u32 s23, s23, 0
	v_or_b32_e32 v20, v6, v20
	s_cmp_lg_u32 s25, 0
	v_or_b32_e32 v21, v7, v21
	s_cbranch_scc1 .LBB3_80
	s_branch .LBB3_83
.LBB3_81:                               ;   in Loop: Header=BB3_29 Depth=1
	s_branch .LBB3_84
.LBB3_82:                               ;   in Loop: Header=BB3_29 Depth=1
	v_mov_b32_e32 v20, 0
	v_mov_b32_e32 v21, 0
.LBB3_83:                               ;   in Loop: Header=BB3_29 Depth=1
	s_cbranch_execnz .LBB3_85
.LBB3_84:                               ;   in Loop: Header=BB3_29 Depth=1
	global_load_dwordx2 v[20:21], v26, s[20:21]
.LBB3_85:                               ;   in Loop: Header=BB3_29 Depth=1
	v_readfirstlane_b32 s6, v31
	v_mov_b32_e32 v6, 0
	v_mov_b32_e32 v7, 0
	v_cmp_eq_u32_e64 s[6:7], s6, v31
	s_and_saveexec_b64 s[20:21], s[6:7]
	s_cbranch_execz .LBB3_91
; %bb.86:                               ;   in Loop: Header=BB3_29 Depth=1
	global_load_dwordx2 v[24:25], v26, s[12:13] offset:24 glc
	s_waitcnt vmcnt(0)
	buffer_wbinvl1_vol
	global_load_dwordx2 v[6:7], v26, s[12:13] offset:40
	global_load_dwordx2 v[22:23], v26, s[12:13]
	s_waitcnt vmcnt(1)
	v_and_b32_e32 v6, v6, v24
	v_and_b32_e32 v7, v7, v25
	v_mul_lo_u32 v7, v7, 24
	v_mul_hi_u32 v27, v6, 24
	v_mul_lo_u32 v6, v6, 24
	v_add_u32_e32 v7, v27, v7
	s_waitcnt vmcnt(0)
	v_add_co_u32_e32 v6, vcc, v22, v6
	v_addc_co_u32_e32 v7, vcc, v23, v7, vcc
	global_load_dwordx2 v[22:23], v[6:7], off glc
	s_waitcnt vmcnt(0)
	global_atomic_cmpswap_x2 v[6:7], v26, v[22:25], s[12:13] offset:24 glc
	s_waitcnt vmcnt(0)
	buffer_wbinvl1_vol
	v_cmp_ne_u64_e32 vcc, v[6:7], v[24:25]
	s_and_saveexec_b64 s[22:23], vcc
	s_cbranch_execz .LBB3_90
; %bb.87:                               ;   in Loop: Header=BB3_29 Depth=1
	s_mov_b64 s[24:25], 0
.LBB3_88:                               ;   Parent Loop BB3_29 Depth=1
                                        ; =>  This Inner Loop Header: Depth=2
	s_sleep 1
	global_load_dwordx2 v[22:23], v26, s[12:13] offset:40
	global_load_dwordx2 v[27:28], v26, s[12:13]
	v_mov_b32_e32 v25, v7
	v_mov_b32_e32 v24, v6
	s_waitcnt vmcnt(1)
	v_and_b32_e32 v6, v22, v24
	s_waitcnt vmcnt(0)
	v_mad_u64_u32 v[6:7], s[26:27], v6, 24, v[27:28]
	v_and_b32_e32 v22, v23, v25
	v_mad_u64_u32 v[22:23], s[26:27], v22, 24, v[7:8]
	v_mov_b32_e32 v7, v22
	global_load_dwordx2 v[22:23], v[6:7], off glc
	s_waitcnt vmcnt(0)
	global_atomic_cmpswap_x2 v[6:7], v26, v[22:25], s[12:13] offset:24 glc
	s_waitcnt vmcnt(0)
	buffer_wbinvl1_vol
	v_cmp_eq_u64_e32 vcc, v[6:7], v[24:25]
	s_or_b64 s[24:25], vcc, s[24:25]
	s_andn2_b64 exec, exec, s[24:25]
	s_cbranch_execnz .LBB3_88
; %bb.89:                               ;   in Loop: Header=BB3_29 Depth=1
	s_or_b64 exec, exec, s[24:25]
.LBB3_90:                               ;   in Loop: Header=BB3_29 Depth=1
	s_or_b64 exec, exec, s[22:23]
.LBB3_91:                               ;   in Loop: Header=BB3_29 Depth=1
	s_or_b64 exec, exec, s[20:21]
	global_load_dwordx2 v[27:28], v26, s[12:13] offset:40
	global_load_dwordx4 v[22:25], v26, s[12:13]
	v_readfirstlane_b32 s21, v7
	v_readfirstlane_b32 s20, v6
	s_mov_b64 s[22:23], exec
	s_waitcnt vmcnt(1)
	v_readfirstlane_b32 s24, v27
	v_readfirstlane_b32 s25, v28
	s_and_b64 s[24:25], s[24:25], s[20:21]
	s_mul_i32 s26, s25, 24
	s_mul_hi_u32 s27, s24, 24
	s_mul_i32 s31, s24, 24
	s_add_i32 s26, s27, s26
	v_mov_b32_e32 v6, s26
	s_waitcnt vmcnt(0)
	v_add_co_u32_e32 v27, vcc, s31, v22
	v_addc_co_u32_e32 v28, vcc, v23, v6, vcc
	s_and_saveexec_b64 s[26:27], s[6:7]
	s_cbranch_execz .LBB3_93
; %bb.92:                               ;   in Loop: Header=BB3_29 Depth=1
	v_mov_b32_e32 v6, s22
	v_mov_b32_e32 v7, s23
	global_store_dwordx4 v[27:28], v[6:9], off offset:8
.LBB3_93:                               ;   in Loop: Header=BB3_29 Depth=1
	s_or_b64 exec, exec, s[26:27]
	s_lshl_b64 s[22:23], s[24:25], 12
	v_mov_b32_e32 v6, s23
	v_add_co_u32_e32 v24, vcc, s22, v24
	v_addc_co_u32_e32 v33, vcc, v25, v6, vcc
	v_cmp_lt_u64_e64 vcc, s[16:17], 57
	s_lshl_b32 s22, s18, 2
	v_cndmask_b32_e32 v6, 0, v32, vcc
	s_add_i32 s22, s22, 28
	v_and_b32_e32 v2, 0xffffff1f, v2
	s_and_b32 s22, s22, 0x1e0
	v_or_b32_e32 v2, v2, v6
	v_or_b32_e32 v2, s22, v2
	v_readfirstlane_b32 s22, v24
	v_readfirstlane_b32 s23, v33
	s_nop 4
	global_store_dwordx4 v30, v[2:5], s[22:23]
	global_store_dwordx4 v30, v[10:13], s[22:23] offset:16
	global_store_dwordx4 v30, v[14:17], s[22:23] offset:32
	;; [unrolled: 1-line block ×3, first 2 shown]
	s_and_saveexec_b64 s[22:23], s[6:7]
	s_cbranch_execz .LBB3_101
; %bb.94:                               ;   in Loop: Header=BB3_29 Depth=1
	global_load_dwordx2 v[12:13], v26, s[12:13] offset:32 glc
	global_load_dwordx2 v[2:3], v26, s[12:13] offset:40
	v_mov_b32_e32 v10, s20
	v_mov_b32_e32 v11, s21
	s_waitcnt vmcnt(0)
	v_readfirstlane_b32 s24, v2
	v_readfirstlane_b32 s25, v3
	s_and_b64 s[24:25], s[24:25], s[20:21]
	s_mul_i32 s25, s25, 24
	s_mul_hi_u32 s26, s24, 24
	s_mul_i32 s24, s24, 24
	s_add_i32 s25, s26, s25
	v_mov_b32_e32 v2, s25
	v_add_co_u32_e32 v6, vcc, s24, v22
	v_addc_co_u32_e32 v7, vcc, v23, v2, vcc
	global_store_dwordx2 v[6:7], v[12:13], off
	s_waitcnt vmcnt(0)
	global_atomic_cmpswap_x2 v[4:5], v26, v[10:13], s[12:13] offset:32 glc
	s_waitcnt vmcnt(0)
	v_cmp_ne_u64_e32 vcc, v[4:5], v[12:13]
	s_and_saveexec_b64 s[24:25], vcc
	s_cbranch_execz .LBB3_97
; %bb.95:                               ;   in Loop: Header=BB3_29 Depth=1
	s_mov_b64 s[26:27], 0
.LBB3_96:                               ;   Parent Loop BB3_29 Depth=1
                                        ; =>  This Inner Loop Header: Depth=2
	s_sleep 1
	global_store_dwordx2 v[6:7], v[4:5], off
	v_mov_b32_e32 v2, s20
	v_mov_b32_e32 v3, s21
	s_waitcnt vmcnt(0)
	global_atomic_cmpswap_x2 v[2:3], v26, v[2:5], s[12:13] offset:32 glc
	s_waitcnt vmcnt(0)
	v_cmp_eq_u64_e32 vcc, v[2:3], v[4:5]
	v_mov_b32_e32 v5, v3
	s_or_b64 s[26:27], vcc, s[26:27]
	v_mov_b32_e32 v4, v2
	s_andn2_b64 exec, exec, s[26:27]
	s_cbranch_execnz .LBB3_96
.LBB3_97:                               ;   in Loop: Header=BB3_29 Depth=1
	s_or_b64 exec, exec, s[24:25]
	global_load_dwordx2 v[2:3], v26, s[12:13] offset:16
	s_mov_b64 s[26:27], exec
	v_mbcnt_lo_u32_b32 v4, s26, 0
	v_mbcnt_hi_u32_b32 v4, s27, v4
	v_cmp_eq_u32_e32 vcc, 0, v4
	s_and_saveexec_b64 s[24:25], vcc
	s_cbranch_execz .LBB3_99
; %bb.98:                               ;   in Loop: Header=BB3_29 Depth=1
	s_bcnt1_i32_b64 s26, s[26:27]
	v_mov_b32_e32 v25, s26
	s_waitcnt vmcnt(0)
	global_atomic_add_x2 v[2:3], v[25:26], off offset:8
.LBB3_99:                               ;   in Loop: Header=BB3_29 Depth=1
	s_or_b64 exec, exec, s[24:25]
	s_waitcnt vmcnt(0)
	global_load_dwordx2 v[4:5], v[2:3], off offset:16
	s_waitcnt vmcnt(0)
	v_cmp_eq_u64_e32 vcc, 0, v[4:5]
	s_cbranch_vccnz .LBB3_101
; %bb.100:                              ;   in Loop: Header=BB3_29 Depth=1
	global_load_dword v25, v[2:3], off offset:24
	s_waitcnt vmcnt(0)
	v_readfirstlane_b32 s24, v25
	s_and_b32 m0, s24, 0xffffff
	global_store_dwordx2 v[4:5], v[25:26], off
	s_sendmsg sendmsg(MSG_INTERRUPT)
.LBB3_101:                              ;   in Loop: Header=BB3_29 Depth=1
	s_or_b64 exec, exec, s[22:23]
	v_add_co_u32_e32 v2, vcc, v24, v30
	v_addc_co_u32_e32 v3, vcc, 0, v33, vcc
	s_branch .LBB3_105
.LBB3_102:                              ;   in Loop: Header=BB3_105 Depth=2
	s_or_b64 exec, exec, s[22:23]
	v_readfirstlane_b32 s22, v4
	s_cmp_eq_u32 s22, 0
	s_cbranch_scc1 .LBB3_104
; %bb.103:                              ;   in Loop: Header=BB3_105 Depth=2
	s_sleep 1
	s_cbranch_execnz .LBB3_105
	s_branch .LBB3_107
.LBB3_104:                              ;   in Loop: Header=BB3_29 Depth=1
	s_branch .LBB3_107
.LBB3_105:                              ;   Parent Loop BB3_29 Depth=1
                                        ; =>  This Inner Loop Header: Depth=2
	v_mov_b32_e32 v4, 1
	s_and_saveexec_b64 s[22:23], s[6:7]
	s_cbranch_execz .LBB3_102
; %bb.106:                              ;   in Loop: Header=BB3_105 Depth=2
	global_load_dword v4, v[27:28], off offset:20 glc
	s_waitcnt vmcnt(0)
	buffer_wbinvl1_vol
	v_and_b32_e32 v4, 1, v4
	s_branch .LBB3_102
.LBB3_107:                              ;   in Loop: Header=BB3_29 Depth=1
	global_load_dwordx2 v[2:3], v[2:3], off
	s_and_saveexec_b64 s[22:23], s[6:7]
	s_cbranch_execz .LBB3_28
; %bb.108:                              ;   in Loop: Header=BB3_29 Depth=1
	global_load_dwordx2 v[4:5], v26, s[12:13] offset:40
	global_load_dwordx2 v[14:15], v26, s[12:13] offset:24 glc
	global_load_dwordx2 v[6:7], v26, s[12:13]
	s_waitcnt vmcnt(2)
	v_readfirstlane_b32 s24, v4
	v_readfirstlane_b32 s25, v5
	s_add_u32 s26, s24, 1
	s_addc_u32 s27, s25, 0
	s_add_u32 s6, s26, s20
	s_addc_u32 s7, s27, s21
	s_cmp_eq_u64 s[6:7], 0
	s_cselect_b32 s7, s27, s7
	s_cselect_b32 s6, s26, s6
	s_and_b64 s[20:21], s[6:7], s[24:25]
	s_mul_i32 s21, s21, 24
	s_mul_hi_u32 s24, s20, 24
	s_mul_i32 s20, s20, 24
	s_add_i32 s21, s24, s21
	v_mov_b32_e32 v4, s21
	s_waitcnt vmcnt(0)
	v_add_co_u32_e32 v10, vcc, s20, v6
	v_addc_co_u32_e32 v11, vcc, v7, v4, vcc
	v_mov_b32_e32 v12, s6
	global_store_dwordx2 v[10:11], v[14:15], off
	v_mov_b32_e32 v13, s7
	s_waitcnt vmcnt(0)
	global_atomic_cmpswap_x2 v[6:7], v26, v[12:15], s[12:13] offset:24 glc
	s_waitcnt vmcnt(0)
	v_cmp_ne_u64_e32 vcc, v[6:7], v[14:15]
	s_and_b64 exec, exec, vcc
	s_cbranch_execz .LBB3_28
; %bb.109:                              ;   in Loop: Header=BB3_29 Depth=1
	s_mov_b64 s[20:21], 0
.LBB3_110:                              ;   Parent Loop BB3_29 Depth=1
                                        ; =>  This Inner Loop Header: Depth=2
	s_sleep 1
	global_store_dwordx2 v[10:11], v[6:7], off
	v_mov_b32_e32 v4, s6
	v_mov_b32_e32 v5, s7
	s_waitcnt vmcnt(0)
	global_atomic_cmpswap_x2 v[4:5], v26, v[4:7], s[12:13] offset:24 glc
	s_waitcnt vmcnt(0)
	v_cmp_eq_u64_e32 vcc, v[4:5], v[6:7]
	v_mov_b32_e32 v7, v5
	s_or_b64 s[20:21], vcc, s[20:21]
	v_mov_b32_e32 v6, v4
	s_andn2_b64 exec, exec, s[20:21]
	s_cbranch_execnz .LBB3_110
	s_branch .LBB3_28
.LBB3_111:
	s_branch .LBB3_139
.LBB3_112:
                                        ; implicit-def: $vgpr2_vgpr3
	s_cbranch_execz .LBB3_139
; %bb.113:
	v_readfirstlane_b32 s6, v31
	v_mov_b32_e32 v8, 0
	v_mov_b32_e32 v9, 0
	v_cmp_eq_u32_e64 s[6:7], s6, v31
	s_and_saveexec_b64 s[14:15], s[6:7]
	s_cbranch_execz .LBB3_119
; %bb.114:
	s_waitcnt vmcnt(0)
	v_mov_b32_e32 v2, 0
	global_load_dwordx2 v[5:6], v2, s[12:13] offset:24 glc
	s_waitcnt vmcnt(0)
	buffer_wbinvl1_vol
	global_load_dwordx2 v[3:4], v2, s[12:13] offset:40
	global_load_dwordx2 v[7:8], v2, s[12:13]
	s_waitcnt vmcnt(1)
	v_and_b32_e32 v3, v3, v5
	v_and_b32_e32 v4, v4, v6
	v_mul_lo_u32 v4, v4, 24
	v_mul_hi_u32 v9, v3, 24
	v_mul_lo_u32 v3, v3, 24
	v_add_u32_e32 v4, v9, v4
	s_waitcnt vmcnt(0)
	v_add_co_u32_e32 v3, vcc, v7, v3
	v_addc_co_u32_e32 v4, vcc, v8, v4, vcc
	global_load_dwordx2 v[3:4], v[3:4], off glc
	s_waitcnt vmcnt(0)
	global_atomic_cmpswap_x2 v[8:9], v2, v[3:6], s[12:13] offset:24 glc
	s_waitcnt vmcnt(0)
	buffer_wbinvl1_vol
	v_cmp_ne_u64_e32 vcc, v[8:9], v[5:6]
	s_and_saveexec_b64 s[16:17], vcc
	s_cbranch_execz .LBB3_118
; %bb.115:
	s_mov_b64 s[18:19], 0
.LBB3_116:                              ; =>This Inner Loop Header: Depth=1
	s_sleep 1
	global_load_dwordx2 v[3:4], v2, s[12:13] offset:40
	global_load_dwordx2 v[10:11], v2, s[12:13]
	v_mov_b32_e32 v5, v8
	v_mov_b32_e32 v6, v9
	s_waitcnt vmcnt(1)
	v_and_b32_e32 v3, v3, v5
	s_waitcnt vmcnt(0)
	v_mad_u64_u32 v[7:8], s[20:21], v3, 24, v[10:11]
	v_and_b32_e32 v4, v4, v6
	v_mov_b32_e32 v3, v8
	v_mad_u64_u32 v[3:4], s[20:21], v4, 24, v[3:4]
	v_mov_b32_e32 v8, v3
	global_load_dwordx2 v[3:4], v[7:8], off glc
	s_waitcnt vmcnt(0)
	global_atomic_cmpswap_x2 v[8:9], v2, v[3:6], s[12:13] offset:24 glc
	s_waitcnt vmcnt(0)
	buffer_wbinvl1_vol
	v_cmp_eq_u64_e32 vcc, v[8:9], v[5:6]
	s_or_b64 s[18:19], vcc, s[18:19]
	s_andn2_b64 exec, exec, s[18:19]
	s_cbranch_execnz .LBB3_116
; %bb.117:
	s_or_b64 exec, exec, s[18:19]
.LBB3_118:
	s_or_b64 exec, exec, s[16:17]
.LBB3_119:
	s_or_b64 exec, exec, s[14:15]
	s_waitcnt vmcnt(0)
	v_mov_b32_e32 v2, 0
	global_load_dwordx2 v[10:11], v2, s[12:13] offset:40
	global_load_dwordx4 v[4:7], v2, s[12:13]
	v_readfirstlane_b32 s15, v9
	v_readfirstlane_b32 s14, v8
	s_mov_b64 s[16:17], exec
	s_waitcnt vmcnt(1)
	v_readfirstlane_b32 s18, v10
	v_readfirstlane_b32 s19, v11
	s_and_b64 s[18:19], s[18:19], s[14:15]
	s_mul_i32 s20, s19, 24
	s_mul_hi_u32 s21, s18, 24
	s_mul_i32 s22, s18, 24
	s_add_i32 s20, s21, s20
	v_mov_b32_e32 v3, s20
	s_waitcnt vmcnt(0)
	v_add_co_u32_e32 v8, vcc, s22, v4
	v_addc_co_u32_e32 v9, vcc, v5, v3, vcc
	s_and_saveexec_b64 s[20:21], s[6:7]
	s_cbranch_execz .LBB3_121
; %bb.120:
	v_mov_b32_e32 v10, s16
	v_mov_b32_e32 v11, s17
	;; [unrolled: 1-line block ×4, first 2 shown]
	global_store_dwordx4 v[8:9], v[10:13], off offset:8
.LBB3_121:
	s_or_b64 exec, exec, s[20:21]
	s_lshl_b64 s[16:17], s[18:19], 12
	v_mov_b32_e32 v3, s17
	v_add_co_u32_e32 v10, vcc, s16, v6
	v_addc_co_u32_e32 v11, vcc, v7, v3, vcc
	s_movk_i32 s16, 0xff1f
	v_and_or_b32 v0, v0, s16, 32
	s_mov_b32 s16, 0
	v_mov_b32_e32 v3, v2
	v_readfirstlane_b32 s20, v10
	v_readfirstlane_b32 s21, v11
	v_add_co_u32_e32 v6, vcc, v10, v30
	s_mov_b32 s17, s16
	s_mov_b32 s18, s16
	;; [unrolled: 1-line block ×3, first 2 shown]
	s_nop 0
	global_store_dwordx4 v30, v[0:3], s[20:21]
	v_addc_co_u32_e32 v7, vcc, 0, v11, vcc
	v_mov_b32_e32 v0, s16
	v_mov_b32_e32 v1, s17
	;; [unrolled: 1-line block ×4, first 2 shown]
	global_store_dwordx4 v30, v[0:3], s[20:21] offset:16
	global_store_dwordx4 v30, v[0:3], s[20:21] offset:32
	;; [unrolled: 1-line block ×3, first 2 shown]
	s_and_saveexec_b64 s[16:17], s[6:7]
	s_cbranch_execz .LBB3_129
; %bb.122:
	v_mov_b32_e32 v10, 0
	global_load_dwordx2 v[13:14], v10, s[12:13] offset:32 glc
	global_load_dwordx2 v[0:1], v10, s[12:13] offset:40
	v_mov_b32_e32 v11, s14
	v_mov_b32_e32 v12, s15
	s_waitcnt vmcnt(0)
	v_readfirstlane_b32 s18, v0
	v_readfirstlane_b32 s19, v1
	s_and_b64 s[18:19], s[18:19], s[14:15]
	s_mul_i32 s19, s19, 24
	s_mul_hi_u32 s20, s18, 24
	s_mul_i32 s18, s18, 24
	s_add_i32 s19, s20, s19
	v_mov_b32_e32 v0, s19
	v_add_co_u32_e32 v4, vcc, s18, v4
	v_addc_co_u32_e32 v5, vcc, v5, v0, vcc
	global_store_dwordx2 v[4:5], v[13:14], off
	s_waitcnt vmcnt(0)
	global_atomic_cmpswap_x2 v[2:3], v10, v[11:14], s[12:13] offset:32 glc
	s_waitcnt vmcnt(0)
	v_cmp_ne_u64_e32 vcc, v[2:3], v[13:14]
	s_and_saveexec_b64 s[18:19], vcc
	s_cbranch_execz .LBB3_125
; %bb.123:
	s_mov_b64 s[20:21], 0
.LBB3_124:                              ; =>This Inner Loop Header: Depth=1
	s_sleep 1
	global_store_dwordx2 v[4:5], v[2:3], off
	v_mov_b32_e32 v0, s14
	v_mov_b32_e32 v1, s15
	s_waitcnt vmcnt(0)
	global_atomic_cmpswap_x2 v[0:1], v10, v[0:3], s[12:13] offset:32 glc
	s_waitcnt vmcnt(0)
	v_cmp_eq_u64_e32 vcc, v[0:1], v[2:3]
	v_mov_b32_e32 v3, v1
	s_or_b64 s[20:21], vcc, s[20:21]
	v_mov_b32_e32 v2, v0
	s_andn2_b64 exec, exec, s[20:21]
	s_cbranch_execnz .LBB3_124
.LBB3_125:
	s_or_b64 exec, exec, s[18:19]
	v_mov_b32_e32 v3, 0
	global_load_dwordx2 v[0:1], v3, s[12:13] offset:16
	s_mov_b64 s[18:19], exec
	v_mbcnt_lo_u32_b32 v2, s18, 0
	v_mbcnt_hi_u32_b32 v2, s19, v2
	v_cmp_eq_u32_e32 vcc, 0, v2
	s_and_saveexec_b64 s[20:21], vcc
	s_cbranch_execz .LBB3_127
; %bb.126:
	s_bcnt1_i32_b64 s18, s[18:19]
	v_mov_b32_e32 v2, s18
	s_waitcnt vmcnt(0)
	global_atomic_add_x2 v[0:1], v[2:3], off offset:8
.LBB3_127:
	s_or_b64 exec, exec, s[20:21]
	s_waitcnt vmcnt(0)
	global_load_dwordx2 v[2:3], v[0:1], off offset:16
	s_waitcnt vmcnt(0)
	v_cmp_eq_u64_e32 vcc, 0, v[2:3]
	s_cbranch_vccnz .LBB3_129
; %bb.128:
	global_load_dword v0, v[0:1], off offset:24
	v_mov_b32_e32 v1, 0
	s_waitcnt vmcnt(0)
	v_readfirstlane_b32 s18, v0
	s_and_b32 m0, s18, 0xffffff
	global_store_dwordx2 v[2:3], v[0:1], off
	s_sendmsg sendmsg(MSG_INTERRUPT)
.LBB3_129:
	s_or_b64 exec, exec, s[16:17]
	s_branch .LBB3_133
.LBB3_130:                              ;   in Loop: Header=BB3_133 Depth=1
	s_or_b64 exec, exec, s[16:17]
	v_readfirstlane_b32 s16, v0
	s_cmp_eq_u32 s16, 0
	s_cbranch_scc1 .LBB3_132
; %bb.131:                              ;   in Loop: Header=BB3_133 Depth=1
	s_sleep 1
	s_cbranch_execnz .LBB3_133
	s_branch .LBB3_135
.LBB3_132:
	s_branch .LBB3_135
.LBB3_133:                              ; =>This Inner Loop Header: Depth=1
	v_mov_b32_e32 v0, 1
	s_and_saveexec_b64 s[16:17], s[6:7]
	s_cbranch_execz .LBB3_130
; %bb.134:                              ;   in Loop: Header=BB3_133 Depth=1
	global_load_dword v0, v[8:9], off offset:20 glc
	s_waitcnt vmcnt(0)
	buffer_wbinvl1_vol
	v_and_b32_e32 v0, 1, v0
	s_branch .LBB3_130
.LBB3_135:
	global_load_dwordx2 v[2:3], v[6:7], off
	s_and_saveexec_b64 s[16:17], s[6:7]
	s_cbranch_execz .LBB3_138
; %bb.136:
	v_mov_b32_e32 v8, 0
	global_load_dwordx2 v[0:1], v8, s[12:13] offset:40
	global_load_dwordx2 v[11:12], v8, s[12:13] offset:24 glc
	global_load_dwordx2 v[4:5], v8, s[12:13]
	s_waitcnt vmcnt(2)
	v_readfirstlane_b32 s18, v0
	v_readfirstlane_b32 s19, v1
	s_add_u32 s20, s18, 1
	s_addc_u32 s21, s19, 0
	s_add_u32 s6, s20, s14
	s_addc_u32 s7, s21, s15
	s_cmp_eq_u64 s[6:7], 0
	s_cselect_b32 s7, s21, s7
	s_cselect_b32 s6, s20, s6
	s_and_b64 s[14:15], s[6:7], s[18:19]
	s_mul_i32 s15, s15, 24
	s_mul_hi_u32 s18, s14, 24
	s_mul_i32 s14, s14, 24
	s_add_i32 s15, s18, s15
	v_mov_b32_e32 v1, s15
	s_waitcnt vmcnt(0)
	v_add_co_u32_e32 v0, vcc, s14, v4
	v_addc_co_u32_e32 v1, vcc, v5, v1, vcc
	v_mov_b32_e32 v9, s6
	global_store_dwordx2 v[0:1], v[11:12], off
	v_mov_b32_e32 v10, s7
	s_waitcnt vmcnt(0)
	global_atomic_cmpswap_x2 v[6:7], v8, v[9:12], s[12:13] offset:24 glc
	s_mov_b64 s[14:15], 0
	s_waitcnt vmcnt(0)
	v_cmp_ne_u64_e32 vcc, v[6:7], v[11:12]
	s_and_b64 exec, exec, vcc
	s_cbranch_execz .LBB3_138
.LBB3_137:                              ; =>This Inner Loop Header: Depth=1
	s_sleep 1
	global_store_dwordx2 v[0:1], v[6:7], off
	v_mov_b32_e32 v4, s6
	v_mov_b32_e32 v5, s7
	s_waitcnt vmcnt(0)
	global_atomic_cmpswap_x2 v[4:5], v8, v[4:7], s[12:13] offset:24 glc
	s_waitcnt vmcnt(0)
	v_cmp_eq_u64_e32 vcc, v[4:5], v[6:7]
	v_mov_b32_e32 v7, v5
	s_or_b64 s[14:15], vcc, s[14:15]
	v_mov_b32_e32 v6, v4
	s_andn2_b64 exec, exec, s[14:15]
	s_cbranch_execnz .LBB3_137
.LBB3_138:
	s_or_b64 exec, exec, s[16:17]
.LBB3_139:
	v_readfirstlane_b32 s6, v31
	s_waitcnt vmcnt(0)
	v_mov_b32_e32 v0, 0
	v_mov_b32_e32 v1, 0
	v_cmp_eq_u32_e64 s[6:7], s6, v31
	s_and_saveexec_b64 s[14:15], s[6:7]
	s_cbranch_execz .LBB3_145
; %bb.140:
	v_mov_b32_e32 v4, 0
	global_load_dwordx2 v[7:8], v4, s[12:13] offset:24 glc
	s_waitcnt vmcnt(0)
	buffer_wbinvl1_vol
	global_load_dwordx2 v[0:1], v4, s[12:13] offset:40
	global_load_dwordx2 v[5:6], v4, s[12:13]
	s_waitcnt vmcnt(1)
	v_and_b32_e32 v0, v0, v7
	v_and_b32_e32 v1, v1, v8
	v_mul_lo_u32 v1, v1, 24
	v_mul_hi_u32 v9, v0, 24
	v_mul_lo_u32 v0, v0, 24
	v_add_u32_e32 v1, v9, v1
	s_waitcnt vmcnt(0)
	v_add_co_u32_e32 v0, vcc, v5, v0
	v_addc_co_u32_e32 v1, vcc, v6, v1, vcc
	global_load_dwordx2 v[5:6], v[0:1], off glc
	s_waitcnt vmcnt(0)
	global_atomic_cmpswap_x2 v[0:1], v4, v[5:8], s[12:13] offset:24 glc
	s_waitcnt vmcnt(0)
	buffer_wbinvl1_vol
	v_cmp_ne_u64_e32 vcc, v[0:1], v[7:8]
	s_and_saveexec_b64 s[16:17], vcc
	s_cbranch_execz .LBB3_144
; %bb.141:
	s_mov_b64 s[18:19], 0
.LBB3_142:                              ; =>This Inner Loop Header: Depth=1
	s_sleep 1
	global_load_dwordx2 v[5:6], v4, s[12:13] offset:40
	global_load_dwordx2 v[9:10], v4, s[12:13]
	v_mov_b32_e32 v8, v1
	v_mov_b32_e32 v7, v0
	s_waitcnt vmcnt(1)
	v_and_b32_e32 v0, v5, v7
	s_waitcnt vmcnt(0)
	v_mad_u64_u32 v[0:1], s[20:21], v0, 24, v[9:10]
	v_and_b32_e32 v5, v6, v8
	v_mad_u64_u32 v[5:6], s[20:21], v5, 24, v[1:2]
	v_mov_b32_e32 v1, v5
	global_load_dwordx2 v[5:6], v[0:1], off glc
	s_waitcnt vmcnt(0)
	global_atomic_cmpswap_x2 v[0:1], v4, v[5:8], s[12:13] offset:24 glc
	s_waitcnt vmcnt(0)
	buffer_wbinvl1_vol
	v_cmp_eq_u64_e32 vcc, v[0:1], v[7:8]
	s_or_b64 s[18:19], vcc, s[18:19]
	s_andn2_b64 exec, exec, s[18:19]
	s_cbranch_execnz .LBB3_142
; %bb.143:
	s_or_b64 exec, exec, s[18:19]
.LBB3_144:
	s_or_b64 exec, exec, s[16:17]
.LBB3_145:
	s_or_b64 exec, exec, s[14:15]
	v_mov_b32_e32 v5, 0
	global_load_dwordx2 v[10:11], v5, s[12:13] offset:40
	global_load_dwordx4 v[6:9], v5, s[12:13]
	v_readfirstlane_b32 s15, v1
	v_readfirstlane_b32 s14, v0
	s_mov_b64 s[16:17], exec
	s_waitcnt vmcnt(1)
	v_readfirstlane_b32 s18, v10
	v_readfirstlane_b32 s19, v11
	s_and_b64 s[18:19], s[18:19], s[14:15]
	s_mul_i32 s20, s19, 24
	s_mul_hi_u32 s21, s18, 24
	s_mul_i32 s22, s18, 24
	s_add_i32 s20, s21, s20
	v_mov_b32_e32 v0, s20
	s_waitcnt vmcnt(0)
	v_add_co_u32_e32 v10, vcc, s22, v6
	v_addc_co_u32_e32 v11, vcc, v7, v0, vcc
	s_and_saveexec_b64 s[20:21], s[6:7]
	s_cbranch_execz .LBB3_147
; %bb.146:
	v_mov_b32_e32 v12, s16
	v_mov_b32_e32 v13, s17
	;; [unrolled: 1-line block ×4, first 2 shown]
	global_store_dwordx4 v[10:11], v[12:15], off offset:8
.LBB3_147:
	s_or_b64 exec, exec, s[20:21]
	s_lshl_b64 s[16:17], s[18:19], 12
	v_mov_b32_e32 v0, s17
	v_add_co_u32_e32 v1, vcc, s16, v8
	s_mul_i32 s16, s28, s29
	s_and_b32 s17, 0xffff, s30
	s_mul_i32 s16, s16, s17
	v_addc_co_u32_e32 v0, vcc, v9, v0, vcc
	s_lshr_b32 s17, s16, 4
	s_movk_i32 s18, 0xff1f
	s_mov_b32 s16, 0
	v_and_or_b32 v2, v2, s18, 32
	v_add_co_u32_e32 v8, vcc, v1, v30
	v_mov_b32_e32 v4, s17
	v_readfirstlane_b32 s20, v1
	v_readfirstlane_b32 s21, v0
	v_addc_co_u32_e32 v9, vcc, 0, v0, vcc
	s_mov_b32 s17, s16
	s_mov_b32 s18, s16
	s_mov_b32 s19, s16
	s_nop 0
	global_store_dwordx4 v30, v[2:5], s[20:21]
	v_mov_b32_e32 v0, s16
	v_mov_b32_e32 v1, s17
	;; [unrolled: 1-line block ×4, first 2 shown]
	global_store_dwordx4 v30, v[0:3], s[20:21] offset:16
	global_store_dwordx4 v30, v[0:3], s[20:21] offset:32
	;; [unrolled: 1-line block ×3, first 2 shown]
	s_and_saveexec_b64 s[16:17], s[6:7]
	s_cbranch_execz .LBB3_155
; %bb.148:
	v_mov_b32_e32 v12, 0
	global_load_dwordx2 v[15:16], v12, s[12:13] offset:32 glc
	global_load_dwordx2 v[0:1], v12, s[12:13] offset:40
	v_mov_b32_e32 v13, s14
	v_mov_b32_e32 v14, s15
	s_waitcnt vmcnt(0)
	v_readfirstlane_b32 s18, v0
	v_readfirstlane_b32 s19, v1
	s_and_b64 s[18:19], s[18:19], s[14:15]
	s_mul_i32 s19, s19, 24
	s_mul_hi_u32 s20, s18, 24
	s_mul_i32 s18, s18, 24
	s_add_i32 s19, s20, s19
	v_mov_b32_e32 v0, s19
	v_add_co_u32_e32 v4, vcc, s18, v6
	v_addc_co_u32_e32 v5, vcc, v7, v0, vcc
	global_store_dwordx2 v[4:5], v[15:16], off
	s_waitcnt vmcnt(0)
	global_atomic_cmpswap_x2 v[2:3], v12, v[13:16], s[12:13] offset:32 glc
	s_waitcnt vmcnt(0)
	v_cmp_ne_u64_e32 vcc, v[2:3], v[15:16]
	s_and_saveexec_b64 s[18:19], vcc
	s_cbranch_execz .LBB3_151
; %bb.149:
	s_mov_b64 s[20:21], 0
.LBB3_150:                              ; =>This Inner Loop Header: Depth=1
	s_sleep 1
	global_store_dwordx2 v[4:5], v[2:3], off
	v_mov_b32_e32 v0, s14
	v_mov_b32_e32 v1, s15
	s_waitcnt vmcnt(0)
	global_atomic_cmpswap_x2 v[0:1], v12, v[0:3], s[12:13] offset:32 glc
	s_waitcnt vmcnt(0)
	v_cmp_eq_u64_e32 vcc, v[0:1], v[2:3]
	v_mov_b32_e32 v3, v1
	s_or_b64 s[20:21], vcc, s[20:21]
	v_mov_b32_e32 v2, v0
	s_andn2_b64 exec, exec, s[20:21]
	s_cbranch_execnz .LBB3_150
.LBB3_151:
	s_or_b64 exec, exec, s[18:19]
	v_mov_b32_e32 v3, 0
	global_load_dwordx2 v[0:1], v3, s[12:13] offset:16
	s_mov_b64 s[18:19], exec
	v_mbcnt_lo_u32_b32 v2, s18, 0
	v_mbcnt_hi_u32_b32 v2, s19, v2
	v_cmp_eq_u32_e32 vcc, 0, v2
	s_and_saveexec_b64 s[20:21], vcc
	s_cbranch_execz .LBB3_153
; %bb.152:
	s_bcnt1_i32_b64 s18, s[18:19]
	v_mov_b32_e32 v2, s18
	s_waitcnt vmcnt(0)
	global_atomic_add_x2 v[0:1], v[2:3], off offset:8
.LBB3_153:
	s_or_b64 exec, exec, s[20:21]
	s_waitcnt vmcnt(0)
	global_load_dwordx2 v[2:3], v[0:1], off offset:16
	s_waitcnt vmcnt(0)
	v_cmp_eq_u64_e32 vcc, 0, v[2:3]
	s_cbranch_vccnz .LBB3_155
; %bb.154:
	global_load_dword v0, v[0:1], off offset:24
	v_mov_b32_e32 v1, 0
	s_waitcnt vmcnt(0)
	v_readfirstlane_b32 s18, v0
	s_and_b32 m0, s18, 0xffffff
	global_store_dwordx2 v[2:3], v[0:1], off
	s_sendmsg sendmsg(MSG_INTERRUPT)
.LBB3_155:
	s_or_b64 exec, exec, s[16:17]
	s_branch .LBB3_159
.LBB3_156:                              ;   in Loop: Header=BB3_159 Depth=1
	s_or_b64 exec, exec, s[16:17]
	v_readfirstlane_b32 s16, v0
	s_cmp_eq_u32 s16, 0
	s_cbranch_scc1 .LBB3_158
; %bb.157:                              ;   in Loop: Header=BB3_159 Depth=1
	s_sleep 1
	s_cbranch_execnz .LBB3_159
	s_branch .LBB3_161
.LBB3_158:
	s_branch .LBB3_161
.LBB3_159:                              ; =>This Inner Loop Header: Depth=1
	v_mov_b32_e32 v0, 1
	s_and_saveexec_b64 s[16:17], s[6:7]
	s_cbranch_execz .LBB3_156
; %bb.160:                              ;   in Loop: Header=BB3_159 Depth=1
	global_load_dword v0, v[10:11], off offset:20 glc
	s_waitcnt vmcnt(0)
	buffer_wbinvl1_vol
	v_and_b32_e32 v0, 1, v0
	s_branch .LBB3_156
.LBB3_161:
	global_load_dwordx2 v[0:1], v[8:9], off
	s_and_saveexec_b64 s[16:17], s[6:7]
	s_cbranch_execz .LBB3_164
; %bb.162:
	v_mov_b32_e32 v8, 0
	global_load_dwordx2 v[2:3], v8, s[12:13] offset:40
	global_load_dwordx2 v[11:12], v8, s[12:13] offset:24 glc
	global_load_dwordx2 v[4:5], v8, s[12:13]
	s_waitcnt vmcnt(2)
	v_readfirstlane_b32 s18, v2
	v_readfirstlane_b32 s19, v3
	s_add_u32 s20, s18, 1
	s_addc_u32 s21, s19, 0
	s_add_u32 s6, s20, s14
	s_addc_u32 s7, s21, s15
	s_cmp_eq_u64 s[6:7], 0
	s_cselect_b32 s7, s21, s7
	s_cselect_b32 s6, s20, s6
	s_and_b64 s[14:15], s[6:7], s[18:19]
	s_mul_i32 s15, s15, 24
	s_mul_hi_u32 s18, s14, 24
	s_mul_i32 s14, s14, 24
	s_add_i32 s15, s18, s15
	v_mov_b32_e32 v2, s15
	s_waitcnt vmcnt(0)
	v_add_co_u32_e32 v6, vcc, s14, v4
	v_addc_co_u32_e32 v7, vcc, v5, v2, vcc
	v_mov_b32_e32 v9, s6
	global_store_dwordx2 v[6:7], v[11:12], off
	v_mov_b32_e32 v10, s7
	s_waitcnt vmcnt(0)
	global_atomic_cmpswap_x2 v[4:5], v8, v[9:12], s[12:13] offset:24 glc
	s_mov_b64 s[14:15], 0
	s_waitcnt vmcnt(0)
	v_cmp_ne_u64_e32 vcc, v[4:5], v[11:12]
	s_and_b64 exec, exec, vcc
	s_cbranch_execz .LBB3_164
.LBB3_163:                              ; =>This Inner Loop Header: Depth=1
	s_sleep 1
	global_store_dwordx2 v[6:7], v[4:5], off
	v_mov_b32_e32 v2, s6
	v_mov_b32_e32 v3, s7
	s_waitcnt vmcnt(0)
	global_atomic_cmpswap_x2 v[2:3], v8, v[2:5], s[12:13] offset:24 glc
	s_waitcnt vmcnt(0)
	v_cmp_eq_u64_e32 vcc, v[2:3], v[4:5]
	v_mov_b32_e32 v5, v3
	s_or_b64 s[14:15], vcc, s[14:15]
	v_mov_b32_e32 v4, v2
	s_andn2_b64 exec, exec, s[14:15]
	s_cbranch_execnz .LBB3_163
.LBB3_164:
	s_or_b64 exec, exec, s[16:17]
	v_readfirstlane_b32 s6, v31
	v_mov_b32_e32 v8, 0
	v_mov_b32_e32 v9, 0
	v_cmp_eq_u32_e64 s[6:7], s6, v31
	s_and_saveexec_b64 s[14:15], s[6:7]
	s_cbranch_execz .LBB3_170
; %bb.165:
	v_mov_b32_e32 v2, 0
	global_load_dwordx2 v[5:6], v2, s[12:13] offset:24 glc
	s_waitcnt vmcnt(0)
	buffer_wbinvl1_vol
	global_load_dwordx2 v[3:4], v2, s[12:13] offset:40
	global_load_dwordx2 v[7:8], v2, s[12:13]
	s_waitcnt vmcnt(1)
	v_and_b32_e32 v3, v3, v5
	v_and_b32_e32 v4, v4, v6
	v_mul_lo_u32 v4, v4, 24
	v_mul_hi_u32 v9, v3, 24
	v_mul_lo_u32 v3, v3, 24
	v_add_u32_e32 v4, v9, v4
	s_waitcnt vmcnt(0)
	v_add_co_u32_e32 v3, vcc, v7, v3
	v_addc_co_u32_e32 v4, vcc, v8, v4, vcc
	global_load_dwordx2 v[3:4], v[3:4], off glc
	s_waitcnt vmcnt(0)
	global_atomic_cmpswap_x2 v[8:9], v2, v[3:6], s[12:13] offset:24 glc
	s_waitcnt vmcnt(0)
	buffer_wbinvl1_vol
	v_cmp_ne_u64_e32 vcc, v[8:9], v[5:6]
	s_and_saveexec_b64 s[16:17], vcc
	s_cbranch_execz .LBB3_169
; %bb.166:
	s_mov_b64 s[18:19], 0
.LBB3_167:                              ; =>This Inner Loop Header: Depth=1
	s_sleep 1
	global_load_dwordx2 v[3:4], v2, s[12:13] offset:40
	global_load_dwordx2 v[10:11], v2, s[12:13]
	v_mov_b32_e32 v5, v8
	v_mov_b32_e32 v6, v9
	s_waitcnt vmcnt(1)
	v_and_b32_e32 v3, v3, v5
	s_waitcnt vmcnt(0)
	v_mad_u64_u32 v[7:8], s[20:21], v3, 24, v[10:11]
	v_and_b32_e32 v4, v4, v6
	v_mov_b32_e32 v3, v8
	v_mad_u64_u32 v[3:4], s[20:21], v4, 24, v[3:4]
	v_mov_b32_e32 v8, v3
	global_load_dwordx2 v[3:4], v[7:8], off glc
	s_waitcnt vmcnt(0)
	global_atomic_cmpswap_x2 v[8:9], v2, v[3:6], s[12:13] offset:24 glc
	s_waitcnt vmcnt(0)
	buffer_wbinvl1_vol
	v_cmp_eq_u64_e32 vcc, v[8:9], v[5:6]
	s_or_b64 s[18:19], vcc, s[18:19]
	s_andn2_b64 exec, exec, s[18:19]
	s_cbranch_execnz .LBB3_167
; %bb.168:
	s_or_b64 exec, exec, s[18:19]
.LBB3_169:
	s_or_b64 exec, exec, s[16:17]
.LBB3_170:
	s_or_b64 exec, exec, s[14:15]
	v_mov_b32_e32 v3, 0
	global_load_dwordx2 v[10:11], v3, s[12:13] offset:40
	global_load_dwordx4 v[4:7], v3, s[12:13]
	v_readfirstlane_b32 s15, v9
	v_readfirstlane_b32 s14, v8
	s_mov_b64 s[16:17], exec
	s_waitcnt vmcnt(1)
	v_readfirstlane_b32 s18, v10
	v_readfirstlane_b32 s19, v11
	s_and_b64 s[18:19], s[18:19], s[14:15]
	s_mul_i32 s20, s19, 24
	s_mul_hi_u32 s21, s18, 24
	s_mul_i32 s22, s18, 24
	s_add_i32 s20, s21, s20
	v_mov_b32_e32 v2, s20
	s_waitcnt vmcnt(0)
	v_add_co_u32_e32 v8, vcc, s22, v4
	v_addc_co_u32_e32 v9, vcc, v5, v2, vcc
	s_and_saveexec_b64 s[20:21], s[6:7]
	s_cbranch_execz .LBB3_172
; %bb.171:
	v_mov_b32_e32 v10, s16
	v_mov_b32_e32 v11, s17
	v_mov_b32_e32 v12, 2
	v_mov_b32_e32 v13, 1
	global_store_dwordx4 v[8:9], v[10:13], off offset:8
.LBB3_172:
	s_or_b64 exec, exec, s[20:21]
	s_lshl_b64 s[16:17], s[18:19], 12
	v_mov_b32_e32 v2, s17
	v_add_co_u32_e32 v6, vcc, s16, v6
	v_addc_co_u32_e32 v7, vcc, v7, v2, vcc
	s_movk_i32 s16, 0xff1d
	v_and_or_b32 v0, v0, s16, 34
	s_mov_b32 s16, 0
	v_mov_b32_e32 v2, 16
	v_readfirstlane_b32 s20, v6
	v_readfirstlane_b32 s21, v7
	s_mov_b32 s17, s16
	s_mov_b32 s18, s16
	;; [unrolled: 1-line block ×3, first 2 shown]
	s_nop 1
	global_store_dwordx4 v30, v[0:3], s[20:21]
	s_nop 0
	v_mov_b32_e32 v0, s16
	v_mov_b32_e32 v1, s17
	;; [unrolled: 1-line block ×4, first 2 shown]
	global_store_dwordx4 v30, v[0:3], s[20:21] offset:16
	global_store_dwordx4 v30, v[0:3], s[20:21] offset:32
	;; [unrolled: 1-line block ×3, first 2 shown]
	s_and_saveexec_b64 s[16:17], s[6:7]
	s_cbranch_execz .LBB3_180
; %bb.173:
	v_mov_b32_e32 v6, 0
	global_load_dwordx2 v[12:13], v6, s[12:13] offset:32 glc
	global_load_dwordx2 v[0:1], v6, s[12:13] offset:40
	v_mov_b32_e32 v10, s14
	v_mov_b32_e32 v11, s15
	s_waitcnt vmcnt(0)
	v_readfirstlane_b32 s18, v0
	v_readfirstlane_b32 s19, v1
	s_and_b64 s[18:19], s[18:19], s[14:15]
	s_mul_i32 s19, s19, 24
	s_mul_hi_u32 s20, s18, 24
	s_mul_i32 s18, s18, 24
	s_add_i32 s19, s20, s19
	v_mov_b32_e32 v0, s19
	v_add_co_u32_e32 v4, vcc, s18, v4
	v_addc_co_u32_e32 v5, vcc, v5, v0, vcc
	global_store_dwordx2 v[4:5], v[12:13], off
	s_waitcnt vmcnt(0)
	global_atomic_cmpswap_x2 v[2:3], v6, v[10:13], s[12:13] offset:32 glc
	s_waitcnt vmcnt(0)
	v_cmp_ne_u64_e32 vcc, v[2:3], v[12:13]
	s_and_saveexec_b64 s[18:19], vcc
	s_cbranch_execz .LBB3_176
; %bb.174:
	s_mov_b64 s[20:21], 0
.LBB3_175:                              ; =>This Inner Loop Header: Depth=1
	s_sleep 1
	global_store_dwordx2 v[4:5], v[2:3], off
	v_mov_b32_e32 v0, s14
	v_mov_b32_e32 v1, s15
	s_waitcnt vmcnt(0)
	global_atomic_cmpswap_x2 v[0:1], v6, v[0:3], s[12:13] offset:32 glc
	s_waitcnt vmcnt(0)
	v_cmp_eq_u64_e32 vcc, v[0:1], v[2:3]
	v_mov_b32_e32 v3, v1
	s_or_b64 s[20:21], vcc, s[20:21]
	v_mov_b32_e32 v2, v0
	s_andn2_b64 exec, exec, s[20:21]
	s_cbranch_execnz .LBB3_175
.LBB3_176:
	s_or_b64 exec, exec, s[18:19]
	v_mov_b32_e32 v3, 0
	global_load_dwordx2 v[0:1], v3, s[12:13] offset:16
	s_mov_b64 s[18:19], exec
	v_mbcnt_lo_u32_b32 v2, s18, 0
	v_mbcnt_hi_u32_b32 v2, s19, v2
	v_cmp_eq_u32_e32 vcc, 0, v2
	s_and_saveexec_b64 s[20:21], vcc
	s_cbranch_execz .LBB3_178
; %bb.177:
	s_bcnt1_i32_b64 s18, s[18:19]
	v_mov_b32_e32 v2, s18
	s_waitcnt vmcnt(0)
	global_atomic_add_x2 v[0:1], v[2:3], off offset:8
.LBB3_178:
	s_or_b64 exec, exec, s[20:21]
	s_waitcnt vmcnt(0)
	global_load_dwordx2 v[2:3], v[0:1], off offset:16
	s_waitcnt vmcnt(0)
	v_cmp_eq_u64_e32 vcc, 0, v[2:3]
	s_cbranch_vccnz .LBB3_180
; %bb.179:
	global_load_dword v0, v[0:1], off offset:24
	v_mov_b32_e32 v1, 0
	s_waitcnt vmcnt(0)
	v_readfirstlane_b32 s18, v0
	s_and_b32 m0, s18, 0xffffff
	global_store_dwordx2 v[2:3], v[0:1], off
	s_sendmsg sendmsg(MSG_INTERRUPT)
.LBB3_180:
	s_or_b64 exec, exec, s[16:17]
	s_branch .LBB3_184
.LBB3_181:                              ;   in Loop: Header=BB3_184 Depth=1
	s_or_b64 exec, exec, s[16:17]
	v_readfirstlane_b32 s16, v0
	s_cmp_eq_u32 s16, 0
	s_cbranch_scc1 .LBB3_183
; %bb.182:                              ;   in Loop: Header=BB3_184 Depth=1
	s_sleep 1
	s_cbranch_execnz .LBB3_184
	s_branch .LBB3_186
.LBB3_183:
	s_branch .LBB3_186
.LBB3_184:                              ; =>This Inner Loop Header: Depth=1
	v_mov_b32_e32 v0, 1
	s_and_saveexec_b64 s[16:17], s[6:7]
	s_cbranch_execz .LBB3_181
; %bb.185:                              ;   in Loop: Header=BB3_184 Depth=1
	global_load_dword v0, v[8:9], off offset:20 glc
	s_waitcnt vmcnt(0)
	buffer_wbinvl1_vol
	v_and_b32_e32 v0, 1, v0
	s_branch .LBB3_181
.LBB3_186:
	s_and_b64 exec, exec, s[6:7]
	s_cbranch_execz .LBB3_189
; %bb.187:
	v_mov_b32_e32 v6, 0
	global_load_dwordx2 v[0:1], v6, s[12:13] offset:40
	global_load_dwordx2 v[9:10], v6, s[12:13] offset:24 glc
	global_load_dwordx2 v[2:3], v6, s[12:13]
	s_waitcnt vmcnt(2)
	v_readfirstlane_b32 s16, v0
	v_readfirstlane_b32 s17, v1
	s_add_u32 s18, s16, 1
	s_addc_u32 s19, s17, 0
	s_add_u32 s6, s18, s14
	s_addc_u32 s7, s19, s15
	s_cmp_eq_u64 s[6:7], 0
	s_cselect_b32 s7, s19, s7
	s_cselect_b32 s6, s18, s6
	s_and_b64 s[14:15], s[6:7], s[16:17]
	s_mul_i32 s15, s15, 24
	s_mul_hi_u32 s16, s14, 24
	s_mul_i32 s14, s14, 24
	s_add_i32 s15, s16, s15
	v_mov_b32_e32 v0, s15
	s_waitcnt vmcnt(0)
	v_add_co_u32_e32 v4, vcc, s14, v2
	v_addc_co_u32_e32 v5, vcc, v3, v0, vcc
	v_mov_b32_e32 v7, s6
	global_store_dwordx2 v[4:5], v[9:10], off
	v_mov_b32_e32 v8, s7
	s_waitcnt vmcnt(0)
	global_atomic_cmpswap_x2 v[2:3], v6, v[7:10], s[12:13] offset:24 glc
	s_mov_b64 s[14:15], 0
	s_waitcnt vmcnt(0)
	v_cmp_ne_u64_e32 vcc, v[2:3], v[9:10]
	s_and_b64 exec, exec, vcc
	s_cbranch_execz .LBB3_189
.LBB3_188:                              ; =>This Inner Loop Header: Depth=1
	s_sleep 1
	global_store_dwordx2 v[4:5], v[2:3], off
	v_mov_b32_e32 v0, s6
	v_mov_b32_e32 v1, s7
	s_waitcnt vmcnt(0)
	global_atomic_cmpswap_x2 v[0:1], v6, v[0:3], s[12:13] offset:24 glc
	s_waitcnt vmcnt(0)
	v_cmp_eq_u64_e32 vcc, v[0:1], v[2:3]
	v_mov_b32_e32 v3, v1
	s_or_b64 s[14:15], vcc, s[14:15]
	v_mov_b32_e32 v2, v0
	s_andn2_b64 exec, exec, s[14:15]
	s_cbranch_execnz .LBB3_188
.LBB3_189:
	s_or_b64 exec, exec, s[10:11]
	s_waitcnt vmcnt(0) lgkmcnt(0)
	s_barrier
	s_load_dword s12, s[4:5], 0x8
	s_load_dwordx2 s[6:7], s[4:5], 0x0
	v_and_b32_e32 v0, 15, v29
	s_waitcnt lgkmcnt(0)
	s_cmp_lt_i32 s12, 1
	s_cbranch_scc1 .LBB3_201
; %bb.190:
	s_cmp_lt_i32 s12, 2
	s_cbranch_scc1 .LBB3_202
; %bb.191:
	s_cmp_eq_u32 s12, 2
                                        ; implicit-def: $vgpr2
	s_cbranch_scc0 .LBB3_400
; %bb.192:
	s_mov_b64 s[4:5], src_private_base
	s_mov_b32 s4, 0
	v_mov_b32_e32 v1, s4
	v_mov_b32_e32 v2, s5
	flat_store_dword v[1:2], v0
	s_waitcnt vmcnt(0)
	flat_load_dword v3, v[1:2] glc
	s_waitcnt vmcnt(0)
	v_mbcnt_lo_u32_b32 v1, -1, 0
	v_mbcnt_hi_u32_b32 v1, -1, v1
	v_and_b32_e32 v2, 0x70, v1
	v_add_u32_e32 v4, -1, v1
	v_cmp_lt_i32_e32 vcc, v4, v2
	v_cndmask_b32_e32 v4, v4, v1, vcc
	v_lshlrev_b32_e32 v4, 2, v4
	v_cmp_ne_u32_e32 vcc, 0, v0
	s_waitcnt lgkmcnt(0)
	ds_bpermute_b32 v3, v4, v3
	s_and_saveexec_b64 s[10:11], vcc
	s_cbranch_execz .LBB3_194
; %bb.193:
	v_mov_b32_e32 v4, s4
	v_mov_b32_e32 v5, s5
	flat_load_dword v6, v[4:5] glc
	s_waitcnt vmcnt(0) lgkmcnt(0)
	v_add_u32_e32 v3, v6, v3
	flat_store_dword v[4:5], v3
	s_waitcnt vmcnt(0)
.LBB3_194:
	s_or_b64 exec, exec, s[10:11]
	s_waitcnt lgkmcnt(0)
	v_mov_b32_e32 v3, s4
	v_mov_b32_e32 v4, s5
	flat_load_dword v3, v[3:4] glc
	s_waitcnt vmcnt(0)
	v_add_u32_e32 v4, -2, v1
	v_cmp_lt_i32_e32 vcc, v4, v2
	v_cndmask_b32_e32 v4, v4, v1, vcc
	v_lshlrev_b32_e32 v4, 2, v4
	v_cmp_lt_u32_e32 vcc, 1, v0
	s_waitcnt lgkmcnt(0)
	ds_bpermute_b32 v3, v4, v3
	s_and_saveexec_b64 s[10:11], vcc
	s_cbranch_execz .LBB3_196
; %bb.195:
	v_mov_b32_e32 v4, s4
	v_mov_b32_e32 v5, s5
	flat_load_dword v6, v[4:5] glc
	s_waitcnt vmcnt(0) lgkmcnt(0)
	v_add_u32_e32 v3, v6, v3
	flat_store_dword v[4:5], v3
	s_waitcnt vmcnt(0)
.LBB3_196:
	s_or_b64 exec, exec, s[10:11]
	s_waitcnt lgkmcnt(0)
	v_mov_b32_e32 v3, s4
	v_mov_b32_e32 v4, s5
	flat_load_dword v3, v[3:4] glc
	s_waitcnt vmcnt(0)
	v_add_u32_e32 v4, -4, v1
	v_cmp_lt_i32_e32 vcc, v4, v2
	v_cndmask_b32_e32 v4, v4, v1, vcc
	v_lshlrev_b32_e32 v4, 2, v4
	v_cmp_lt_u32_e32 vcc, 3, v0
	;; [unrolled: 24-line block ×3, first 2 shown]
	s_waitcnt lgkmcnt(0)
	ds_bpermute_b32 v1, v1, v3
	s_and_saveexec_b64 s[10:11], vcc
	s_cbranch_execz .LBB3_200
; %bb.199:
	v_mov_b32_e32 v2, s4
	v_mov_b32_e32 v3, s5
	flat_load_dword v4, v[2:3] glc
	s_waitcnt vmcnt(0) lgkmcnt(0)
	v_add_u32_e32 v1, v4, v1
	flat_store_dword v[2:3], v1
	s_waitcnt vmcnt(0)
.LBB3_200:
	s_or_b64 exec, exec, s[10:11]
	s_waitcnt lgkmcnt(0)
	v_mov_b32_e32 v1, s4
	v_mov_b32_e32 v2, s5
	flat_load_dword v2, v[1:2] glc
	s_waitcnt vmcnt(0)
	v_mov_b32_e32 v30, 0
	v_lshlrev_b64 v[3:4], 2, v[29:30]
	v_mov_b32_e32 v1, s7
	v_add_co_u32_e32 v3, vcc, s6, v3
	v_addc_co_u32_e32 v4, vcc, v1, v4, vcc
	s_waitcnt lgkmcnt(0)
	global_store_dword v[3:4], v2, off
	s_cbranch_execz .LBB3_203
	s_branch .LBB3_204
.LBB3_201:
                                        ; implicit-def: $vgpr2
	s_branch .LBB3_205
.LBB3_202:
                                        ; implicit-def: $vgpr2
.LBB3_203:
	v_mbcnt_lo_u32_b32 v1, -1, 0
	v_mbcnt_hi_u32_b32 v1, -1, v1
	v_and_b32_e32 v2, 0x70, v1
	v_add_u32_e32 v2, 16, v2
	v_xor_b32_e32 v3, 8, v1
	v_cmp_lt_i32_e32 vcc, v3, v2
	v_cndmask_b32_e32 v3, v1, v3, vcc
	v_lshlrev_b32_e32 v3, 2, v3
	ds_bpermute_b32 v3, v3, v0
	v_xor_b32_e32 v4, 4, v1
	v_cmp_lt_i32_e32 vcc, v4, v2
	v_cndmask_b32_e32 v4, v1, v4, vcc
	v_lshlrev_b32_e32 v4, 2, v4
	s_waitcnt lgkmcnt(0)
	v_add_u32_e32 v3, v3, v0
	ds_bpermute_b32 v4, v4, v3
	v_xor_b32_e32 v5, 2, v1
	v_cmp_lt_i32_e32 vcc, v5, v2
	s_waitcnt lgkmcnt(0)
	v_add_u32_e32 v3, v4, v3
	v_cndmask_b32_e32 v4, v1, v5, vcc
	v_lshlrev_b32_e32 v4, 2, v4
	ds_bpermute_b32 v4, v4, v3
	v_xor_b32_e32 v5, 1, v1
	v_cmp_lt_i32_e32 vcc, v5, v2
	v_cndmask_b32_e32 v1, v1, v5, vcc
	v_lshlrev_b32_e32 v1, 2, v1
	s_waitcnt lgkmcnt(0)
	v_add_u32_e32 v3, v4, v3
	ds_bpermute_b32 v1, v1, v3
	v_cmp_eq_u32_e32 vcc, 0, v0
	s_waitcnt lgkmcnt(0)
	v_add_u32_e32 v1, v1, v3
	v_cndmask_b32_e32 v2, -1, v1, vcc
.LBB3_204:
	s_cbranch_execnz .LBB3_209
.LBB3_205:
	s_cmp_lg_u32 s12, 0
                                        ; implicit-def: $vgpr2
	s_cbranch_scc1 .LBB3_209
; %bb.206:
	s_mov_b64 s[4:5], src_private_base
	s_mov_b32 s4, 4
	v_mov_b32_e32 v3, s4
	v_mov_b32_e32 v4, s5
	flat_store_dword v[3:4], v0
	s_waitcnt vmcnt(0)
	flat_load_dword v1, v[3:4] glc
	s_waitcnt vmcnt(0)
	flat_load_dword v2, v[3:4] glc
	s_waitcnt vmcnt(0)
	v_mbcnt_lo_u32_b32 v5, -1, 0
	v_mbcnt_hi_u32_b32 v5, -1, v5
	v_lshl_or_b32 v6, v5, 2, 32
	s_waitcnt lgkmcnt(0)
	ds_bpermute_b32 v1, v6, v1
	v_and_b32_e32 v6, 15, v5
	v_cmp_gt_u32_e32 vcc, 12, v6
	v_cndmask_b32_e64 v7, 0, 4, vcc
	v_add_lshl_u32 v7, v7, v5, 2
	s_waitcnt lgkmcnt(0)
	v_add_u32_e32 v1, v2, v1
	flat_store_dword v[3:4], v1
	s_waitcnt vmcnt(0)
	flat_load_dword v1, v[3:4] glc
	s_waitcnt vmcnt(0)
	flat_load_dword v2, v[3:4] glc
	s_waitcnt vmcnt(0)
	v_cmp_gt_u32_e32 vcc, 14, v6
	s_waitcnt lgkmcnt(0)
	ds_bpermute_b32 v1, v7, v1
	v_cndmask_b32_e64 v7, 0, 2, vcc
	v_add_lshl_u32 v7, v7, v5, 2
	v_cmp_ne_u32_e32 vcc, 15, v6
	s_waitcnt lgkmcnt(0)
	v_add_u32_e32 v1, v2, v1
	flat_store_dword v[3:4], v1
	s_waitcnt vmcnt(0)
	flat_load_dword v1, v[3:4] glc
	s_waitcnt vmcnt(0)
	flat_load_dword v2, v[3:4] glc
	s_waitcnt vmcnt(0) lgkmcnt(0)
	ds_bpermute_b32 v1, v7, v1
	s_waitcnt lgkmcnt(0)
	v_add_u32_e32 v1, v2, v1
	flat_store_dword v[3:4], v1
	s_waitcnt vmcnt(0)
	flat_load_dword v1, v[3:4] glc
	s_waitcnt vmcnt(0)
	flat_load_dword v7, v[3:4] glc
	s_waitcnt vmcnt(0)
	v_addc_co_u32_e32 v2, vcc, 0, v5, vcc
	v_lshlrev_b32_e32 v2, 2, v2
	v_cmp_eq_u32_e32 vcc, 0, v0
	s_waitcnt lgkmcnt(0)
	ds_bpermute_b32 v1, v2, v1
	v_mov_b32_e32 v2, -1
	s_waitcnt lgkmcnt(0)
	v_add_u32_e32 v1, v7, v1
	flat_store_dword v[3:4], v1
	s_waitcnt vmcnt(0)
	s_and_saveexec_b64 s[10:11], vcc
	s_cbranch_execz .LBB3_208
; %bb.207:
	v_mov_b32_e32 v1, s4
	v_mov_b32_e32 v2, s5
	flat_load_dword v2, v[1:2] glc
	s_waitcnt vmcnt(0)
.LBB3_208:
	s_or_b64 exec, exec, s[10:11]
.LBB3_209:
	s_cmp_lg_u32 s12, 2
	v_cmp_eq_u32_e32 vcc, 0, v0
	s_cselect_b64 s[4:5], -1, 0
	s_and_b64 s[4:5], s[4:5], vcc
	s_and_saveexec_b64 s[10:11], s[4:5]
	s_cbranch_execz .LBB3_399
; %bb.210:
	s_load_dwordx2 s[8:9], s[8:9], 0x50
	v_mbcnt_lo_u32_b32 v0, -1, 0
	v_mbcnt_hi_u32_b32 v33, -1, v0
	v_readfirstlane_b32 s4, v33
	v_mov_b32_e32 v0, 0
	v_mov_b32_e32 v1, 0
	v_cmp_eq_u32_e64 s[4:5], s4, v33
	s_and_saveexec_b64 s[10:11], s[4:5]
	s_cbranch_execz .LBB3_216
; %bb.211:
	v_mov_b32_e32 v3, 0
	s_waitcnt lgkmcnt(0)
	global_load_dwordx2 v[6:7], v3, s[8:9] offset:24 glc
	s_waitcnt vmcnt(0)
	buffer_wbinvl1_vol
	global_load_dwordx2 v[0:1], v3, s[8:9] offset:40
	global_load_dwordx2 v[4:5], v3, s[8:9]
	s_waitcnt vmcnt(1)
	v_and_b32_e32 v0, v0, v6
	v_and_b32_e32 v1, v1, v7
	v_mul_lo_u32 v1, v1, 24
	v_mul_hi_u32 v8, v0, 24
	v_mul_lo_u32 v0, v0, 24
	v_add_u32_e32 v1, v8, v1
	s_waitcnt vmcnt(0)
	v_add_co_u32_e32 v0, vcc, v4, v0
	v_addc_co_u32_e32 v1, vcc, v5, v1, vcc
	global_load_dwordx2 v[4:5], v[0:1], off glc
	s_waitcnt vmcnt(0)
	global_atomic_cmpswap_x2 v[0:1], v3, v[4:7], s[8:9] offset:24 glc
	s_waitcnt vmcnt(0)
	buffer_wbinvl1_vol
	v_cmp_ne_u64_e32 vcc, v[0:1], v[6:7]
	s_and_saveexec_b64 s[12:13], vcc
	s_cbranch_execz .LBB3_215
; %bb.212:
	s_mov_b64 s[14:15], 0
.LBB3_213:                              ; =>This Inner Loop Header: Depth=1
	s_sleep 1
	global_load_dwordx2 v[4:5], v3, s[8:9] offset:40
	global_load_dwordx2 v[8:9], v3, s[8:9]
	v_mov_b32_e32 v7, v1
	v_mov_b32_e32 v6, v0
	s_waitcnt vmcnt(1)
	v_and_b32_e32 v0, v4, v6
	s_waitcnt vmcnt(0)
	v_mad_u64_u32 v[0:1], s[16:17], v0, 24, v[8:9]
	v_and_b32_e32 v4, v5, v7
	v_mad_u64_u32 v[4:5], s[16:17], v4, 24, v[1:2]
	v_mov_b32_e32 v1, v4
	global_load_dwordx2 v[4:5], v[0:1], off glc
	s_waitcnt vmcnt(0)
	global_atomic_cmpswap_x2 v[0:1], v3, v[4:7], s[8:9] offset:24 glc
	s_waitcnt vmcnt(0)
	buffer_wbinvl1_vol
	v_cmp_eq_u64_e32 vcc, v[0:1], v[6:7]
	s_or_b64 s[14:15], vcc, s[14:15]
	s_andn2_b64 exec, exec, s[14:15]
	s_cbranch_execnz .LBB3_213
; %bb.214:
	s_or_b64 exec, exec, s[14:15]
.LBB3_215:
	s_or_b64 exec, exec, s[12:13]
.LBB3_216:
	s_or_b64 exec, exec, s[10:11]
	v_mov_b32_e32 v7, 0
	s_waitcnt lgkmcnt(0)
	global_load_dwordx2 v[8:9], v7, s[8:9] offset:40
	global_load_dwordx4 v[3:6], v7, s[8:9]
	v_readfirstlane_b32 s11, v1
	v_readfirstlane_b32 s10, v0
	s_mov_b64 s[12:13], exec
	s_waitcnt vmcnt(1)
	v_readfirstlane_b32 s14, v8
	v_readfirstlane_b32 s15, v9
	s_and_b64 s[14:15], s[14:15], s[10:11]
	s_mul_i32 s16, s15, 24
	s_mul_hi_u32 s17, s14, 24
	s_mul_i32 s18, s14, 24
	s_add_i32 s16, s17, s16
	v_mov_b32_e32 v1, s16
	s_waitcnt vmcnt(0)
	v_add_co_u32_e32 v0, vcc, s18, v3
	v_addc_co_u32_e32 v1, vcc, v4, v1, vcc
	s_and_saveexec_b64 s[16:17], s[4:5]
	s_cbranch_execz .LBB3_218
; %bb.217:
	v_mov_b32_e32 v8, s12
	v_mov_b32_e32 v9, s13
	;; [unrolled: 1-line block ×4, first 2 shown]
	global_store_dwordx4 v[0:1], v[8:11], off offset:8
.LBB3_218:
	s_or_b64 exec, exec, s[16:17]
	s_lshl_b64 s[12:13], s[14:15], 12
	v_mov_b32_e32 v8, s13
	v_add_co_u32_e32 v5, vcc, s12, v5
	v_addc_co_u32_e32 v12, vcc, v6, v8, vcc
	v_lshlrev_b32_e32 v32, 6, v33
	s_mov_b32 s12, 0
	v_mov_b32_e32 v6, 33
	v_mov_b32_e32 v8, v7
	;; [unrolled: 1-line block ×3, first 2 shown]
	v_readfirstlane_b32 s16, v5
	v_readfirstlane_b32 s17, v12
	v_add_co_u32_e32 v10, vcc, v5, v32
	s_mov_b32 s13, s12
	s_mov_b32 s14, s12
	;; [unrolled: 1-line block ×3, first 2 shown]
	s_nop 0
	global_store_dwordx4 v32, v[6:9], s[16:17]
	v_mov_b32_e32 v5, s12
	v_addc_co_u32_e32 v11, vcc, 0, v12, vcc
	v_mov_b32_e32 v6, s13
	v_mov_b32_e32 v7, s14
	;; [unrolled: 1-line block ×3, first 2 shown]
	global_store_dwordx4 v32, v[5:8], s[16:17] offset:16
	global_store_dwordx4 v32, v[5:8], s[16:17] offset:32
	;; [unrolled: 1-line block ×3, first 2 shown]
	s_and_saveexec_b64 s[12:13], s[4:5]
	s_cbranch_execz .LBB3_226
; %bb.219:
	v_mov_b32_e32 v9, 0
	global_load_dwordx2 v[14:15], v9, s[8:9] offset:32 glc
	global_load_dwordx2 v[5:6], v9, s[8:9] offset:40
	v_mov_b32_e32 v12, s10
	v_mov_b32_e32 v13, s11
	s_waitcnt vmcnt(0)
	v_and_b32_e32 v5, s10, v5
	v_and_b32_e32 v6, s11, v6
	v_mul_lo_u32 v6, v6, 24
	v_mul_hi_u32 v7, v5, 24
	v_mul_lo_u32 v5, v5, 24
	v_add_u32_e32 v6, v7, v6
	v_add_co_u32_e32 v7, vcc, v3, v5
	v_addc_co_u32_e32 v8, vcc, v4, v6, vcc
	global_store_dwordx2 v[7:8], v[14:15], off
	s_waitcnt vmcnt(0)
	global_atomic_cmpswap_x2 v[5:6], v9, v[12:15], s[8:9] offset:32 glc
	s_waitcnt vmcnt(0)
	v_cmp_ne_u64_e32 vcc, v[5:6], v[14:15]
	s_and_saveexec_b64 s[14:15], vcc
	s_cbranch_execz .LBB3_222
; %bb.220:
	s_mov_b64 s[16:17], 0
.LBB3_221:                              ; =>This Inner Loop Header: Depth=1
	s_sleep 1
	global_store_dwordx2 v[7:8], v[5:6], off
	v_mov_b32_e32 v3, s10
	v_mov_b32_e32 v4, s11
	s_waitcnt vmcnt(0)
	global_atomic_cmpswap_x2 v[3:4], v9, v[3:6], s[8:9] offset:32 glc
	s_waitcnt vmcnt(0)
	v_cmp_eq_u64_e32 vcc, v[3:4], v[5:6]
	v_mov_b32_e32 v6, v4
	s_or_b64 s[16:17], vcc, s[16:17]
	v_mov_b32_e32 v5, v3
	s_andn2_b64 exec, exec, s[16:17]
	s_cbranch_execnz .LBB3_221
.LBB3_222:
	s_or_b64 exec, exec, s[14:15]
	v_mov_b32_e32 v6, 0
	global_load_dwordx2 v[3:4], v6, s[8:9] offset:16
	s_mov_b64 s[14:15], exec
	v_mbcnt_lo_u32_b32 v5, s14, 0
	v_mbcnt_hi_u32_b32 v5, s15, v5
	v_cmp_eq_u32_e32 vcc, 0, v5
	s_and_saveexec_b64 s[16:17], vcc
	s_cbranch_execz .LBB3_224
; %bb.223:
	s_bcnt1_i32_b64 s14, s[14:15]
	v_mov_b32_e32 v5, s14
	s_waitcnt vmcnt(0)
	global_atomic_add_x2 v[3:4], v[5:6], off offset:8
.LBB3_224:
	s_or_b64 exec, exec, s[16:17]
	s_waitcnt vmcnt(0)
	global_load_dwordx2 v[5:6], v[3:4], off offset:16
	s_waitcnt vmcnt(0)
	v_cmp_eq_u64_e32 vcc, 0, v[5:6]
	s_cbranch_vccnz .LBB3_226
; %bb.225:
	global_load_dword v3, v[3:4], off offset:24
	v_mov_b32_e32 v4, 0
	s_waitcnt vmcnt(0)
	v_readfirstlane_b32 s14, v3
	s_and_b32 m0, s14, 0xffffff
	global_store_dwordx2 v[5:6], v[3:4], off
	s_sendmsg sendmsg(MSG_INTERRUPT)
.LBB3_226:
	s_or_b64 exec, exec, s[12:13]
	s_branch .LBB3_230
.LBB3_227:                              ;   in Loop: Header=BB3_230 Depth=1
	s_or_b64 exec, exec, s[12:13]
	v_readfirstlane_b32 s12, v3
	s_cmp_eq_u32 s12, 0
	s_cbranch_scc1 .LBB3_229
; %bb.228:                              ;   in Loop: Header=BB3_230 Depth=1
	s_sleep 1
	s_cbranch_execnz .LBB3_230
	s_branch .LBB3_232
.LBB3_229:
	s_branch .LBB3_232
.LBB3_230:                              ; =>This Inner Loop Header: Depth=1
	v_mov_b32_e32 v3, 1
	s_and_saveexec_b64 s[12:13], s[4:5]
	s_cbranch_execz .LBB3_227
; %bb.231:                              ;   in Loop: Header=BB3_230 Depth=1
	global_load_dword v3, v[0:1], off offset:20 glc
	s_waitcnt vmcnt(0)
	buffer_wbinvl1_vol
	v_and_b32_e32 v3, 1, v3
	s_branch .LBB3_227
.LBB3_232:
	global_load_dwordx2 v[3:4], v[10:11], off
	s_and_saveexec_b64 s[12:13], s[4:5]
	s_cbranch_execz .LBB3_235
; %bb.233:
	v_mov_b32_e32 v9, 0
	global_load_dwordx2 v[0:1], v9, s[8:9] offset:40
	global_load_dwordx2 v[12:13], v9, s[8:9] offset:24 glc
	global_load_dwordx2 v[5:6], v9, s[8:9]
	s_waitcnt vmcnt(2)
	v_readfirstlane_b32 s14, v0
	v_readfirstlane_b32 s15, v1
	s_add_u32 s16, s14, 1
	s_addc_u32 s17, s15, 0
	s_add_u32 s4, s16, s10
	s_addc_u32 s5, s17, s11
	s_cmp_eq_u64 s[4:5], 0
	s_cselect_b32 s5, s17, s5
	s_cselect_b32 s4, s16, s4
	s_and_b64 s[10:11], s[4:5], s[14:15]
	s_mul_i32 s11, s11, 24
	s_mul_hi_u32 s14, s10, 24
	s_mul_i32 s10, s10, 24
	s_add_i32 s11, s14, s11
	v_mov_b32_e32 v1, s11
	s_waitcnt vmcnt(0)
	v_add_co_u32_e32 v0, vcc, s10, v5
	v_addc_co_u32_e32 v1, vcc, v6, v1, vcc
	v_mov_b32_e32 v10, s4
	global_store_dwordx2 v[0:1], v[12:13], off
	v_mov_b32_e32 v11, s5
	s_waitcnt vmcnt(0)
	global_atomic_cmpswap_x2 v[7:8], v9, v[10:13], s[8:9] offset:24 glc
	s_mov_b64 s[10:11], 0
	s_waitcnt vmcnt(0)
	v_cmp_ne_u64_e32 vcc, v[7:8], v[12:13]
	s_and_b64 exec, exec, vcc
	s_cbranch_execz .LBB3_235
.LBB3_234:                              ; =>This Inner Loop Header: Depth=1
	s_sleep 1
	global_store_dwordx2 v[0:1], v[7:8], off
	v_mov_b32_e32 v5, s4
	v_mov_b32_e32 v6, s5
	s_waitcnt vmcnt(0)
	global_atomic_cmpswap_x2 v[5:6], v9, v[5:8], s[8:9] offset:24 glc
	s_waitcnt vmcnt(0)
	v_cmp_eq_u64_e32 vcc, v[5:6], v[7:8]
	v_mov_b32_e32 v8, v6
	s_or_b64 s[10:11], vcc, s[10:11]
	v_mov_b32_e32 v7, v5
	s_andn2_b64 exec, exec, s[10:11]
	s_cbranch_execnz .LBB3_234
.LBB3_235:
	s_or_b64 exec, exec, s[12:13]
	s_getpc_b64 s[10:11]
	s_add_u32 s10, s10, .str.1@rel32@lo+4
	s_addc_u32 s11, s11, .str.1@rel32@hi+12
	s_cmp_lg_u64 s[10:11], 0
	s_cbranch_scc0 .LBB3_321
; %bb.236:
	s_waitcnt vmcnt(0)
	v_and_b32_e32 v34, 2, v3
	v_mov_b32_e32 v1, 0
	v_and_b32_e32 v5, -3, v3
	v_mov_b32_e32 v6, v4
	s_mov_b64 s[12:13], 58
	v_mov_b32_e32 v11, 2
	v_mov_b32_e32 v12, 1
	s_branch .LBB3_238
.LBB3_237:                              ;   in Loop: Header=BB3_238 Depth=1
	s_or_b64 exec, exec, s[18:19]
	s_sub_u32 s12, s12, s14
	s_subb_u32 s13, s13, s15
	s_add_u32 s10, s10, s14
	s_addc_u32 s11, s11, s15
	s_cmp_lg_u64 s[12:13], 0
	s_cbranch_scc0 .LBB3_320
.LBB3_238:                              ; =>This Loop Header: Depth=1
                                        ;     Child Loop BB3_241 Depth 2
                                        ;     Child Loop BB3_249 Depth 2
	;; [unrolled: 1-line block ×11, first 2 shown]
	v_cmp_lt_u64_e64 s[4:5], s[12:13], 56
	v_cmp_gt_u64_e64 s[16:17], s[12:13], 7
	s_and_b64 s[4:5], s[4:5], exec
	s_cselect_b32 s15, s13, 0
	s_cselect_b32 s14, s12, 56
	s_add_u32 s4, s10, 8
	s_addc_u32 s5, s11, 0
	s_and_b64 vcc, exec, s[16:17]
	s_cbranch_vccnz .LBB3_242
; %bb.239:                              ;   in Loop: Header=BB3_238 Depth=1
	s_cmp_eq_u64 s[12:13], 0
	s_cbranch_scc1 .LBB3_243
; %bb.240:                              ;   in Loop: Header=BB3_238 Depth=1
	v_mov_b32_e32 v7, 0
	s_lshl_b64 s[4:5], s[14:15], 3
	s_mov_b64 s[16:17], 0
	v_mov_b32_e32 v8, 0
	s_mov_b64 s[18:19], s[10:11]
.LBB3_241:                              ;   Parent Loop BB3_238 Depth=1
                                        ; =>  This Inner Loop Header: Depth=2
	global_load_ubyte v0, v1, s[18:19]
	s_waitcnt vmcnt(0)
	v_and_b32_e32 v0, 0xffff, v0
	v_lshlrev_b64 v[9:10], s16, v[0:1]
	s_add_u32 s16, s16, 8
	s_addc_u32 s17, s17, 0
	s_add_u32 s18, s18, 1
	s_addc_u32 s19, s19, 0
	v_or_b32_e32 v7, v9, v7
	s_cmp_lg_u32 s4, s16
	v_or_b32_e32 v8, v10, v8
	s_cbranch_scc1 .LBB3_241
	s_branch .LBB3_244
.LBB3_242:                              ;   in Loop: Header=BB3_238 Depth=1
	s_mov_b32 s20, 0
	s_branch .LBB3_245
.LBB3_243:                              ;   in Loop: Header=BB3_238 Depth=1
	v_mov_b32_e32 v7, 0
	v_mov_b32_e32 v8, 0
.LBB3_244:                              ;   in Loop: Header=BB3_238 Depth=1
	s_mov_b64 s[4:5], s[10:11]
	s_mov_b32 s20, 0
	s_cbranch_execnz .LBB3_246
.LBB3_245:                              ;   in Loop: Header=BB3_238 Depth=1
	global_load_dwordx2 v[7:8], v1, s[10:11]
	s_add_i32 s20, s14, -8
.LBB3_246:                              ;   in Loop: Header=BB3_238 Depth=1
	s_add_u32 s16, s4, 8
	s_addc_u32 s17, s5, 0
	s_cmp_gt_u32 s20, 7
	s_cbranch_scc1 .LBB3_250
; %bb.247:                              ;   in Loop: Header=BB3_238 Depth=1
	s_cmp_eq_u32 s20, 0
	s_cbranch_scc1 .LBB3_251
; %bb.248:                              ;   in Loop: Header=BB3_238 Depth=1
	v_mov_b32_e32 v13, 0
	s_mov_b64 s[16:17], 0
	v_mov_b32_e32 v14, 0
	s_mov_b64 s[18:19], 0
.LBB3_249:                              ;   Parent Loop BB3_238 Depth=1
                                        ; =>  This Inner Loop Header: Depth=2
	s_add_u32 s22, s4, s18
	s_addc_u32 s23, s5, s19
	global_load_ubyte v0, v1, s[22:23]
	s_add_u32 s18, s18, 1
	s_addc_u32 s19, s19, 0
	s_waitcnt vmcnt(0)
	v_and_b32_e32 v0, 0xffff, v0
	v_lshlrev_b64 v[9:10], s16, v[0:1]
	s_add_u32 s16, s16, 8
	s_addc_u32 s17, s17, 0
	v_or_b32_e32 v13, v9, v13
	s_cmp_lg_u32 s20, s18
	v_or_b32_e32 v14, v10, v14
	s_cbranch_scc1 .LBB3_249
	s_branch .LBB3_252
.LBB3_250:                              ;   in Loop: Header=BB3_238 Depth=1
                                        ; implicit-def: $vgpr13_vgpr14
	s_mov_b32 s21, 0
	s_branch .LBB3_253
.LBB3_251:                              ;   in Loop: Header=BB3_238 Depth=1
	v_mov_b32_e32 v13, 0
	v_mov_b32_e32 v14, 0
.LBB3_252:                              ;   in Loop: Header=BB3_238 Depth=1
	s_mov_b64 s[16:17], s[4:5]
	s_mov_b32 s21, 0
	s_cbranch_execnz .LBB3_254
.LBB3_253:                              ;   in Loop: Header=BB3_238 Depth=1
	global_load_dwordx2 v[13:14], v1, s[4:5]
	s_add_i32 s21, s20, -8
.LBB3_254:                              ;   in Loop: Header=BB3_238 Depth=1
	s_add_u32 s4, s16, 8
	s_addc_u32 s5, s17, 0
	s_cmp_gt_u32 s21, 7
	s_cbranch_scc1 .LBB3_258
; %bb.255:                              ;   in Loop: Header=BB3_238 Depth=1
	s_cmp_eq_u32 s21, 0
	s_cbranch_scc1 .LBB3_259
; %bb.256:                              ;   in Loop: Header=BB3_238 Depth=1
	v_mov_b32_e32 v15, 0
	s_mov_b64 s[4:5], 0
	v_mov_b32_e32 v16, 0
	s_mov_b64 s[18:19], 0
.LBB3_257:                              ;   Parent Loop BB3_238 Depth=1
                                        ; =>  This Inner Loop Header: Depth=2
	s_add_u32 s22, s16, s18
	s_addc_u32 s23, s17, s19
	global_load_ubyte v0, v1, s[22:23]
	s_add_u32 s18, s18, 1
	s_addc_u32 s19, s19, 0
	s_waitcnt vmcnt(0)
	v_and_b32_e32 v0, 0xffff, v0
	v_lshlrev_b64 v[9:10], s4, v[0:1]
	s_add_u32 s4, s4, 8
	s_addc_u32 s5, s5, 0
	v_or_b32_e32 v15, v9, v15
	s_cmp_lg_u32 s21, s18
	v_or_b32_e32 v16, v10, v16
	s_cbranch_scc1 .LBB3_257
	s_branch .LBB3_260
.LBB3_258:                              ;   in Loop: Header=BB3_238 Depth=1
	s_mov_b32 s20, 0
	s_branch .LBB3_261
.LBB3_259:                              ;   in Loop: Header=BB3_238 Depth=1
	v_mov_b32_e32 v15, 0
	v_mov_b32_e32 v16, 0
.LBB3_260:                              ;   in Loop: Header=BB3_238 Depth=1
	s_mov_b64 s[4:5], s[16:17]
	s_mov_b32 s20, 0
	s_cbranch_execnz .LBB3_262
.LBB3_261:                              ;   in Loop: Header=BB3_238 Depth=1
	global_load_dwordx2 v[15:16], v1, s[16:17]
	s_add_i32 s20, s21, -8
.LBB3_262:                              ;   in Loop: Header=BB3_238 Depth=1
	s_add_u32 s16, s4, 8
	s_addc_u32 s17, s5, 0
	s_cmp_gt_u32 s20, 7
	s_cbranch_scc1 .LBB3_266
; %bb.263:                              ;   in Loop: Header=BB3_238 Depth=1
	s_cmp_eq_u32 s20, 0
	s_cbranch_scc1 .LBB3_267
; %bb.264:                              ;   in Loop: Header=BB3_238 Depth=1
	v_mov_b32_e32 v17, 0
	s_mov_b64 s[16:17], 0
	v_mov_b32_e32 v18, 0
	s_mov_b64 s[18:19], 0
.LBB3_265:                              ;   Parent Loop BB3_238 Depth=1
                                        ; =>  This Inner Loop Header: Depth=2
	s_add_u32 s22, s4, s18
	s_addc_u32 s23, s5, s19
	global_load_ubyte v0, v1, s[22:23]
	s_add_u32 s18, s18, 1
	s_addc_u32 s19, s19, 0
	s_waitcnt vmcnt(0)
	v_and_b32_e32 v0, 0xffff, v0
	v_lshlrev_b64 v[9:10], s16, v[0:1]
	s_add_u32 s16, s16, 8
	s_addc_u32 s17, s17, 0
	v_or_b32_e32 v17, v9, v17
	s_cmp_lg_u32 s20, s18
	v_or_b32_e32 v18, v10, v18
	s_cbranch_scc1 .LBB3_265
	s_branch .LBB3_268
.LBB3_266:                              ;   in Loop: Header=BB3_238 Depth=1
                                        ; implicit-def: $vgpr17_vgpr18
	s_mov_b32 s21, 0
	s_branch .LBB3_269
.LBB3_267:                              ;   in Loop: Header=BB3_238 Depth=1
	v_mov_b32_e32 v17, 0
	v_mov_b32_e32 v18, 0
.LBB3_268:                              ;   in Loop: Header=BB3_238 Depth=1
	s_mov_b64 s[16:17], s[4:5]
	s_mov_b32 s21, 0
	s_cbranch_execnz .LBB3_270
.LBB3_269:                              ;   in Loop: Header=BB3_238 Depth=1
	global_load_dwordx2 v[17:18], v1, s[4:5]
	s_add_i32 s21, s20, -8
.LBB3_270:                              ;   in Loop: Header=BB3_238 Depth=1
	s_add_u32 s4, s16, 8
	s_addc_u32 s5, s17, 0
	s_cmp_gt_u32 s21, 7
	s_cbranch_scc1 .LBB3_274
; %bb.271:                              ;   in Loop: Header=BB3_238 Depth=1
	s_cmp_eq_u32 s21, 0
	s_cbranch_scc1 .LBB3_275
; %bb.272:                              ;   in Loop: Header=BB3_238 Depth=1
	v_mov_b32_e32 v19, 0
	s_mov_b64 s[4:5], 0
	v_mov_b32_e32 v20, 0
	s_mov_b64 s[18:19], 0
.LBB3_273:                              ;   Parent Loop BB3_238 Depth=1
                                        ; =>  This Inner Loop Header: Depth=2
	s_add_u32 s22, s16, s18
	s_addc_u32 s23, s17, s19
	global_load_ubyte v0, v1, s[22:23]
	s_add_u32 s18, s18, 1
	s_addc_u32 s19, s19, 0
	s_waitcnt vmcnt(0)
	v_and_b32_e32 v0, 0xffff, v0
	v_lshlrev_b64 v[9:10], s4, v[0:1]
	s_add_u32 s4, s4, 8
	s_addc_u32 s5, s5, 0
	v_or_b32_e32 v19, v9, v19
	s_cmp_lg_u32 s21, s18
	v_or_b32_e32 v20, v10, v20
	s_cbranch_scc1 .LBB3_273
	s_branch .LBB3_276
.LBB3_274:                              ;   in Loop: Header=BB3_238 Depth=1
	s_mov_b32 s20, 0
	s_branch .LBB3_277
.LBB3_275:                              ;   in Loop: Header=BB3_238 Depth=1
	v_mov_b32_e32 v19, 0
	v_mov_b32_e32 v20, 0
.LBB3_276:                              ;   in Loop: Header=BB3_238 Depth=1
	s_mov_b64 s[4:5], s[16:17]
	s_mov_b32 s20, 0
	s_cbranch_execnz .LBB3_278
.LBB3_277:                              ;   in Loop: Header=BB3_238 Depth=1
	global_load_dwordx2 v[19:20], v1, s[16:17]
	s_add_i32 s20, s21, -8
.LBB3_278:                              ;   in Loop: Header=BB3_238 Depth=1
	s_add_u32 s16, s4, 8
	s_addc_u32 s17, s5, 0
	s_cmp_gt_u32 s20, 7
	s_cbranch_scc1 .LBB3_282
; %bb.279:                              ;   in Loop: Header=BB3_238 Depth=1
	s_cmp_eq_u32 s20, 0
	s_cbranch_scc1 .LBB3_283
; %bb.280:                              ;   in Loop: Header=BB3_238 Depth=1
	v_mov_b32_e32 v21, 0
	s_mov_b64 s[16:17], 0
	v_mov_b32_e32 v22, 0
	s_mov_b64 s[18:19], 0
.LBB3_281:                              ;   Parent Loop BB3_238 Depth=1
                                        ; =>  This Inner Loop Header: Depth=2
	s_add_u32 s22, s4, s18
	s_addc_u32 s23, s5, s19
	global_load_ubyte v0, v1, s[22:23]
	s_add_u32 s18, s18, 1
	s_addc_u32 s19, s19, 0
	s_waitcnt vmcnt(0)
	v_and_b32_e32 v0, 0xffff, v0
	v_lshlrev_b64 v[9:10], s16, v[0:1]
	s_add_u32 s16, s16, 8
	s_addc_u32 s17, s17, 0
	v_or_b32_e32 v21, v9, v21
	s_cmp_lg_u32 s20, s18
	v_or_b32_e32 v22, v10, v22
	s_cbranch_scc1 .LBB3_281
	s_branch .LBB3_284
.LBB3_282:                              ;   in Loop: Header=BB3_238 Depth=1
                                        ; implicit-def: $vgpr21_vgpr22
	s_mov_b32 s21, 0
	s_branch .LBB3_285
.LBB3_283:                              ;   in Loop: Header=BB3_238 Depth=1
	v_mov_b32_e32 v21, 0
	v_mov_b32_e32 v22, 0
.LBB3_284:                              ;   in Loop: Header=BB3_238 Depth=1
	s_mov_b64 s[16:17], s[4:5]
	s_mov_b32 s21, 0
	s_cbranch_execnz .LBB3_286
.LBB3_285:                              ;   in Loop: Header=BB3_238 Depth=1
	global_load_dwordx2 v[21:22], v1, s[4:5]
	s_add_i32 s21, s20, -8
.LBB3_286:                              ;   in Loop: Header=BB3_238 Depth=1
	s_cmp_gt_u32 s21, 7
	s_cbranch_scc1 .LBB3_290
; %bb.287:                              ;   in Loop: Header=BB3_238 Depth=1
	s_cmp_eq_u32 s21, 0
	s_cbranch_scc1 .LBB3_291
; %bb.288:                              ;   in Loop: Header=BB3_238 Depth=1
	v_mov_b32_e32 v23, 0
	s_mov_b64 s[4:5], 0
	v_mov_b32_e32 v24, 0
	s_mov_b64 s[18:19], s[16:17]
.LBB3_289:                              ;   Parent Loop BB3_238 Depth=1
                                        ; =>  This Inner Loop Header: Depth=2
	global_load_ubyte v0, v1, s[18:19]
	s_add_i32 s21, s21, -1
	s_waitcnt vmcnt(0)
	v_and_b32_e32 v0, 0xffff, v0
	v_lshlrev_b64 v[9:10], s4, v[0:1]
	s_add_u32 s4, s4, 8
	s_addc_u32 s5, s5, 0
	s_add_u32 s18, s18, 1
	s_addc_u32 s19, s19, 0
	v_or_b32_e32 v23, v9, v23
	s_cmp_lg_u32 s21, 0
	v_or_b32_e32 v24, v10, v24
	s_cbranch_scc1 .LBB3_289
	s_branch .LBB3_292
.LBB3_290:                              ;   in Loop: Header=BB3_238 Depth=1
	s_branch .LBB3_293
.LBB3_291:                              ;   in Loop: Header=BB3_238 Depth=1
	v_mov_b32_e32 v23, 0
	v_mov_b32_e32 v24, 0
.LBB3_292:                              ;   in Loop: Header=BB3_238 Depth=1
	s_cbranch_execnz .LBB3_294
.LBB3_293:                              ;   in Loop: Header=BB3_238 Depth=1
	global_load_dwordx2 v[23:24], v1, s[16:17]
.LBB3_294:                              ;   in Loop: Header=BB3_238 Depth=1
	v_readfirstlane_b32 s4, v33
	v_mov_b32_e32 v9, 0
	v_mov_b32_e32 v10, 0
	v_cmp_eq_u32_e64 s[4:5], s4, v33
	s_and_saveexec_b64 s[16:17], s[4:5]
	s_cbranch_execz .LBB3_300
; %bb.295:                              ;   in Loop: Header=BB3_238 Depth=1
	global_load_dwordx2 v[27:28], v1, s[8:9] offset:24 glc
	s_waitcnt vmcnt(0)
	buffer_wbinvl1_vol
	global_load_dwordx2 v[9:10], v1, s[8:9] offset:40
	global_load_dwordx2 v[25:26], v1, s[8:9]
	s_waitcnt vmcnt(1)
	v_and_b32_e32 v0, v9, v27
	v_and_b32_e32 v9, v10, v28
	v_mul_lo_u32 v9, v9, 24
	v_mul_hi_u32 v10, v0, 24
	v_mul_lo_u32 v0, v0, 24
	v_add_u32_e32 v10, v10, v9
	s_waitcnt vmcnt(0)
	v_add_co_u32_e32 v9, vcc, v25, v0
	v_addc_co_u32_e32 v10, vcc, v26, v10, vcc
	global_load_dwordx2 v[25:26], v[9:10], off glc
	s_waitcnt vmcnt(0)
	global_atomic_cmpswap_x2 v[9:10], v1, v[25:28], s[8:9] offset:24 glc
	s_waitcnt vmcnt(0)
	buffer_wbinvl1_vol
	v_cmp_ne_u64_e32 vcc, v[9:10], v[27:28]
	s_and_saveexec_b64 s[18:19], vcc
	s_cbranch_execz .LBB3_299
; %bb.296:                              ;   in Loop: Header=BB3_238 Depth=1
	s_mov_b64 s[20:21], 0
.LBB3_297:                              ;   Parent Loop BB3_238 Depth=1
                                        ; =>  This Inner Loop Header: Depth=2
	s_sleep 1
	global_load_dwordx2 v[25:26], v1, s[8:9] offset:40
	global_load_dwordx2 v[30:31], v1, s[8:9]
	v_mov_b32_e32 v28, v10
	v_mov_b32_e32 v27, v9
	s_waitcnt vmcnt(1)
	v_and_b32_e32 v0, v25, v27
	s_waitcnt vmcnt(0)
	v_mad_u64_u32 v[9:10], s[22:23], v0, 24, v[30:31]
	v_and_b32_e32 v25, v26, v28
	v_mov_b32_e32 v0, v10
	v_mad_u64_u32 v[25:26], s[22:23], v25, 24, v[0:1]
	v_mov_b32_e32 v10, v25
	global_load_dwordx2 v[25:26], v[9:10], off glc
	s_waitcnt vmcnt(0)
	global_atomic_cmpswap_x2 v[9:10], v1, v[25:28], s[8:9] offset:24 glc
	s_waitcnt vmcnt(0)
	buffer_wbinvl1_vol
	v_cmp_eq_u64_e32 vcc, v[9:10], v[27:28]
	s_or_b64 s[20:21], vcc, s[20:21]
	s_andn2_b64 exec, exec, s[20:21]
	s_cbranch_execnz .LBB3_297
; %bb.298:                              ;   in Loop: Header=BB3_238 Depth=1
	s_or_b64 exec, exec, s[20:21]
.LBB3_299:                              ;   in Loop: Header=BB3_238 Depth=1
	s_or_b64 exec, exec, s[18:19]
.LBB3_300:                              ;   in Loop: Header=BB3_238 Depth=1
	s_or_b64 exec, exec, s[16:17]
	global_load_dwordx2 v[30:31], v1, s[8:9] offset:40
	global_load_dwordx4 v[25:28], v1, s[8:9]
	v_readfirstlane_b32 s17, v10
	v_readfirstlane_b32 s16, v9
	s_mov_b64 s[18:19], exec
	s_waitcnt vmcnt(1)
	v_readfirstlane_b32 s20, v30
	v_readfirstlane_b32 s21, v31
	s_and_b64 s[20:21], s[20:21], s[16:17]
	s_mul_i32 s22, s21, 24
	s_mul_hi_u32 s23, s20, 24
	s_mul_i32 s24, s20, 24
	s_add_i32 s22, s23, s22
	v_mov_b32_e32 v0, s22
	s_waitcnt vmcnt(0)
	v_add_co_u32_e32 v30, vcc, s24, v25
	v_addc_co_u32_e32 v31, vcc, v26, v0, vcc
	s_and_saveexec_b64 s[22:23], s[4:5]
	s_cbranch_execz .LBB3_302
; %bb.301:                              ;   in Loop: Header=BB3_238 Depth=1
	v_mov_b32_e32 v9, s18
	v_mov_b32_e32 v10, s19
	global_store_dwordx4 v[30:31], v[9:12], off offset:8
.LBB3_302:                              ;   in Loop: Header=BB3_238 Depth=1
	s_or_b64 exec, exec, s[22:23]
	s_lshl_b64 s[18:19], s[20:21], 12
	v_mov_b32_e32 v0, s19
	v_add_co_u32_e32 v27, vcc, s18, v27
	v_addc_co_u32_e32 v28, vcc, v28, v0, vcc
	v_cmp_lt_u64_e64 vcc, s[12:13], 57
	s_lshl_b32 s18, s14, 2
	v_cndmask_b32_e32 v0, 0, v34, vcc
	s_add_i32 s18, s18, 28
	v_and_b32_e32 v5, 0xffffff1f, v5
	s_and_b32 s18, s18, 0x1e0
	v_or_b32_e32 v0, v5, v0
	v_or_b32_e32 v5, s18, v0
	v_readfirstlane_b32 s18, v27
	v_readfirstlane_b32 s19, v28
	s_nop 4
	global_store_dwordx4 v32, v[5:8], s[18:19]
	global_store_dwordx4 v32, v[13:16], s[18:19] offset:16
	global_store_dwordx4 v32, v[17:20], s[18:19] offset:32
	;; [unrolled: 1-line block ×3, first 2 shown]
	s_and_saveexec_b64 s[18:19], s[4:5]
	s_cbranch_execz .LBB3_310
; %bb.303:                              ;   in Loop: Header=BB3_238 Depth=1
	global_load_dwordx2 v[15:16], v1, s[8:9] offset:32 glc
	global_load_dwordx2 v[5:6], v1, s[8:9] offset:40
	v_mov_b32_e32 v13, s16
	v_mov_b32_e32 v14, s17
	s_waitcnt vmcnt(0)
	v_readfirstlane_b32 s20, v5
	v_readfirstlane_b32 s21, v6
	s_and_b64 s[20:21], s[20:21], s[16:17]
	s_mul_i32 s21, s21, 24
	s_mul_hi_u32 s22, s20, 24
	s_mul_i32 s20, s20, 24
	s_add_i32 s21, s22, s21
	v_mov_b32_e32 v0, s21
	v_add_co_u32_e32 v9, vcc, s20, v25
	v_addc_co_u32_e32 v10, vcc, v26, v0, vcc
	global_store_dwordx2 v[9:10], v[15:16], off
	s_waitcnt vmcnt(0)
	global_atomic_cmpswap_x2 v[7:8], v1, v[13:16], s[8:9] offset:32 glc
	s_waitcnt vmcnt(0)
	v_cmp_ne_u64_e32 vcc, v[7:8], v[15:16]
	s_and_saveexec_b64 s[20:21], vcc
	s_cbranch_execz .LBB3_306
; %bb.304:                              ;   in Loop: Header=BB3_238 Depth=1
	s_mov_b64 s[22:23], 0
.LBB3_305:                              ;   Parent Loop BB3_238 Depth=1
                                        ; =>  This Inner Loop Header: Depth=2
	s_sleep 1
	global_store_dwordx2 v[9:10], v[7:8], off
	v_mov_b32_e32 v5, s16
	v_mov_b32_e32 v6, s17
	s_waitcnt vmcnt(0)
	global_atomic_cmpswap_x2 v[5:6], v1, v[5:8], s[8:9] offset:32 glc
	s_waitcnt vmcnt(0)
	v_cmp_eq_u64_e32 vcc, v[5:6], v[7:8]
	v_mov_b32_e32 v8, v6
	s_or_b64 s[22:23], vcc, s[22:23]
	v_mov_b32_e32 v7, v5
	s_andn2_b64 exec, exec, s[22:23]
	s_cbranch_execnz .LBB3_305
.LBB3_306:                              ;   in Loop: Header=BB3_238 Depth=1
	s_or_b64 exec, exec, s[20:21]
	global_load_dwordx2 v[5:6], v1, s[8:9] offset:16
	s_mov_b64 s[22:23], exec
	v_mbcnt_lo_u32_b32 v0, s22, 0
	v_mbcnt_hi_u32_b32 v0, s23, v0
	v_cmp_eq_u32_e32 vcc, 0, v0
	s_and_saveexec_b64 s[20:21], vcc
	s_cbranch_execz .LBB3_308
; %bb.307:                              ;   in Loop: Header=BB3_238 Depth=1
	s_bcnt1_i32_b64 s22, s[22:23]
	v_mov_b32_e32 v0, s22
	s_waitcnt vmcnt(0)
	global_atomic_add_x2 v[5:6], v[0:1], off offset:8
.LBB3_308:                              ;   in Loop: Header=BB3_238 Depth=1
	s_or_b64 exec, exec, s[20:21]
	s_waitcnt vmcnt(0)
	global_load_dwordx2 v[7:8], v[5:6], off offset:16
	s_waitcnt vmcnt(0)
	v_cmp_eq_u64_e32 vcc, 0, v[7:8]
	s_cbranch_vccnz .LBB3_310
; %bb.309:                              ;   in Loop: Header=BB3_238 Depth=1
	global_load_dword v0, v[5:6], off offset:24
	s_waitcnt vmcnt(0)
	v_readfirstlane_b32 s20, v0
	s_and_b32 m0, s20, 0xffffff
	global_store_dwordx2 v[7:8], v[0:1], off
	s_sendmsg sendmsg(MSG_INTERRUPT)
.LBB3_310:                              ;   in Loop: Header=BB3_238 Depth=1
	s_or_b64 exec, exec, s[18:19]
	v_add_co_u32_e32 v5, vcc, v27, v32
	v_addc_co_u32_e32 v6, vcc, 0, v28, vcc
	s_branch .LBB3_314
.LBB3_311:                              ;   in Loop: Header=BB3_314 Depth=2
	s_or_b64 exec, exec, s[18:19]
	v_readfirstlane_b32 s18, v0
	s_cmp_eq_u32 s18, 0
	s_cbranch_scc1 .LBB3_313
; %bb.312:                              ;   in Loop: Header=BB3_314 Depth=2
	s_sleep 1
	s_cbranch_execnz .LBB3_314
	s_branch .LBB3_316
.LBB3_313:                              ;   in Loop: Header=BB3_238 Depth=1
	s_branch .LBB3_316
.LBB3_314:                              ;   Parent Loop BB3_238 Depth=1
                                        ; =>  This Inner Loop Header: Depth=2
	v_mov_b32_e32 v0, 1
	s_and_saveexec_b64 s[18:19], s[4:5]
	s_cbranch_execz .LBB3_311
; %bb.315:                              ;   in Loop: Header=BB3_314 Depth=2
	global_load_dword v0, v[30:31], off offset:20 glc
	s_waitcnt vmcnt(0)
	buffer_wbinvl1_vol
	v_and_b32_e32 v0, 1, v0
	s_branch .LBB3_311
.LBB3_316:                              ;   in Loop: Header=BB3_238 Depth=1
	global_load_dwordx2 v[5:6], v[5:6], off
	s_and_saveexec_b64 s[18:19], s[4:5]
	s_cbranch_execz .LBB3_237
; %bb.317:                              ;   in Loop: Header=BB3_238 Depth=1
	global_load_dwordx2 v[7:8], v1, s[8:9] offset:40
	global_load_dwordx2 v[17:18], v1, s[8:9] offset:24 glc
	global_load_dwordx2 v[9:10], v1, s[8:9]
	s_waitcnt vmcnt(2)
	v_readfirstlane_b32 s20, v7
	v_readfirstlane_b32 s21, v8
	s_add_u32 s22, s20, 1
	s_addc_u32 s23, s21, 0
	s_add_u32 s4, s22, s16
	s_addc_u32 s5, s23, s17
	s_cmp_eq_u64 s[4:5], 0
	s_cselect_b32 s5, s23, s5
	s_cselect_b32 s4, s22, s4
	s_and_b64 s[16:17], s[4:5], s[20:21]
	s_mul_i32 s17, s17, 24
	s_mul_hi_u32 s20, s16, 24
	s_mul_i32 s16, s16, 24
	s_add_i32 s17, s20, s17
	v_mov_b32_e32 v0, s17
	s_waitcnt vmcnt(0)
	v_add_co_u32_e32 v13, vcc, s16, v9
	v_addc_co_u32_e32 v14, vcc, v10, v0, vcc
	v_mov_b32_e32 v15, s4
	global_store_dwordx2 v[13:14], v[17:18], off
	v_mov_b32_e32 v16, s5
	s_waitcnt vmcnt(0)
	global_atomic_cmpswap_x2 v[9:10], v1, v[15:18], s[8:9] offset:24 glc
	s_waitcnt vmcnt(0)
	v_cmp_ne_u64_e32 vcc, v[9:10], v[17:18]
	s_and_b64 exec, exec, vcc
	s_cbranch_execz .LBB3_237
; %bb.318:                              ;   in Loop: Header=BB3_238 Depth=1
	s_mov_b64 s[16:17], 0
.LBB3_319:                              ;   Parent Loop BB3_238 Depth=1
                                        ; =>  This Inner Loop Header: Depth=2
	s_sleep 1
	global_store_dwordx2 v[13:14], v[9:10], off
	v_mov_b32_e32 v7, s4
	v_mov_b32_e32 v8, s5
	s_waitcnt vmcnt(0)
	global_atomic_cmpswap_x2 v[7:8], v1, v[7:10], s[8:9] offset:24 glc
	s_waitcnt vmcnt(0)
	v_cmp_eq_u64_e32 vcc, v[7:8], v[9:10]
	v_mov_b32_e32 v10, v8
	s_or_b64 s[16:17], vcc, s[16:17]
	v_mov_b32_e32 v9, v7
	s_andn2_b64 exec, exec, s[16:17]
	s_cbranch_execnz .LBB3_319
	s_branch .LBB3_237
.LBB3_320:
	s_branch .LBB3_348
.LBB3_321:
                                        ; implicit-def: $vgpr5_vgpr6
	s_cbranch_execz .LBB3_348
; %bb.322:
	v_readfirstlane_b32 s4, v33
	v_mov_b32_e32 v0, 0
	v_mov_b32_e32 v1, 0
	v_cmp_eq_u32_e64 s[4:5], s4, v33
	s_and_saveexec_b64 s[10:11], s[4:5]
	s_cbranch_execz .LBB3_328
; %bb.323:
	s_waitcnt vmcnt(0)
	v_mov_b32_e32 v5, 0
	global_load_dwordx2 v[8:9], v5, s[8:9] offset:24 glc
	s_waitcnt vmcnt(0)
	buffer_wbinvl1_vol
	global_load_dwordx2 v[0:1], v5, s[8:9] offset:40
	global_load_dwordx2 v[6:7], v5, s[8:9]
	s_waitcnt vmcnt(1)
	v_and_b32_e32 v0, v0, v8
	v_and_b32_e32 v1, v1, v9
	v_mul_lo_u32 v1, v1, 24
	v_mul_hi_u32 v10, v0, 24
	v_mul_lo_u32 v0, v0, 24
	v_add_u32_e32 v1, v10, v1
	s_waitcnt vmcnt(0)
	v_add_co_u32_e32 v0, vcc, v6, v0
	v_addc_co_u32_e32 v1, vcc, v7, v1, vcc
	global_load_dwordx2 v[6:7], v[0:1], off glc
	s_waitcnt vmcnt(0)
	global_atomic_cmpswap_x2 v[0:1], v5, v[6:9], s[8:9] offset:24 glc
	s_waitcnt vmcnt(0)
	buffer_wbinvl1_vol
	v_cmp_ne_u64_e32 vcc, v[0:1], v[8:9]
	s_and_saveexec_b64 s[12:13], vcc
	s_cbranch_execz .LBB3_327
; %bb.324:
	s_mov_b64 s[14:15], 0
.LBB3_325:                              ; =>This Inner Loop Header: Depth=1
	s_sleep 1
	global_load_dwordx2 v[6:7], v5, s[8:9] offset:40
	global_load_dwordx2 v[10:11], v5, s[8:9]
	v_mov_b32_e32 v9, v1
	v_mov_b32_e32 v8, v0
	s_waitcnt vmcnt(1)
	v_and_b32_e32 v0, v6, v8
	s_waitcnt vmcnt(0)
	v_mad_u64_u32 v[0:1], s[16:17], v0, 24, v[10:11]
	v_and_b32_e32 v6, v7, v9
	v_mad_u64_u32 v[6:7], s[16:17], v6, 24, v[1:2]
	v_mov_b32_e32 v1, v6
	global_load_dwordx2 v[6:7], v[0:1], off glc
	s_waitcnt vmcnt(0)
	global_atomic_cmpswap_x2 v[0:1], v5, v[6:9], s[8:9] offset:24 glc
	s_waitcnt vmcnt(0)
	buffer_wbinvl1_vol
	v_cmp_eq_u64_e32 vcc, v[0:1], v[8:9]
	s_or_b64 s[14:15], vcc, s[14:15]
	s_andn2_b64 exec, exec, s[14:15]
	s_cbranch_execnz .LBB3_325
; %bb.326:
	s_or_b64 exec, exec, s[14:15]
.LBB3_327:
	s_or_b64 exec, exec, s[12:13]
.LBB3_328:
	s_or_b64 exec, exec, s[10:11]
	s_waitcnt vmcnt(0)
	v_mov_b32_e32 v5, 0
	global_load_dwordx2 v[11:12], v5, s[8:9] offset:40
	global_load_dwordx4 v[7:10], v5, s[8:9]
	v_readfirstlane_b32 s11, v1
	v_readfirstlane_b32 s10, v0
	s_mov_b64 s[12:13], exec
	s_waitcnt vmcnt(1)
	v_readfirstlane_b32 s14, v11
	v_readfirstlane_b32 s15, v12
	s_and_b64 s[14:15], s[14:15], s[10:11]
	s_mul_i32 s16, s15, 24
	s_mul_hi_u32 s17, s14, 24
	s_mul_i32 s18, s14, 24
	s_add_i32 s16, s17, s16
	v_mov_b32_e32 v1, s16
	s_waitcnt vmcnt(0)
	v_add_co_u32_e32 v0, vcc, s18, v7
	v_addc_co_u32_e32 v1, vcc, v8, v1, vcc
	s_and_saveexec_b64 s[16:17], s[4:5]
	s_cbranch_execz .LBB3_330
; %bb.329:
	v_mov_b32_e32 v11, s12
	v_mov_b32_e32 v12, s13
	;; [unrolled: 1-line block ×4, first 2 shown]
	global_store_dwordx4 v[0:1], v[11:14], off offset:8
.LBB3_330:
	s_or_b64 exec, exec, s[16:17]
	s_lshl_b64 s[12:13], s[14:15], 12
	v_mov_b32_e32 v6, s13
	v_add_co_u32_e32 v11, vcc, s12, v9
	v_addc_co_u32_e32 v12, vcc, v10, v6, vcc
	s_movk_i32 s12, 0xff1f
	v_and_or_b32 v3, v3, s12, 32
	s_mov_b32 s12, 0
	v_mov_b32_e32 v6, v5
	v_readfirstlane_b32 s16, v11
	v_readfirstlane_b32 s17, v12
	v_add_co_u32_e32 v9, vcc, v11, v32
	s_mov_b32 s13, s12
	s_mov_b32 s14, s12
	;; [unrolled: 1-line block ×3, first 2 shown]
	s_nop 0
	global_store_dwordx4 v32, v[3:6], s[16:17]
	v_addc_co_u32_e32 v10, vcc, 0, v12, vcc
	v_mov_b32_e32 v3, s12
	v_mov_b32_e32 v4, s13
	;; [unrolled: 1-line block ×4, first 2 shown]
	global_store_dwordx4 v32, v[3:6], s[16:17] offset:16
	global_store_dwordx4 v32, v[3:6], s[16:17] offset:32
	;; [unrolled: 1-line block ×3, first 2 shown]
	s_and_saveexec_b64 s[12:13], s[4:5]
	s_cbranch_execz .LBB3_338
; %bb.331:
	v_mov_b32_e32 v11, 0
	global_load_dwordx2 v[14:15], v11, s[8:9] offset:32 glc
	global_load_dwordx2 v[3:4], v11, s[8:9] offset:40
	v_mov_b32_e32 v12, s10
	v_mov_b32_e32 v13, s11
	s_waitcnt vmcnt(0)
	v_readfirstlane_b32 s14, v3
	v_readfirstlane_b32 s15, v4
	s_and_b64 s[14:15], s[14:15], s[10:11]
	s_mul_i32 s15, s15, 24
	s_mul_hi_u32 s16, s14, 24
	s_mul_i32 s14, s14, 24
	s_add_i32 s15, s16, s15
	v_mov_b32_e32 v3, s15
	v_add_co_u32_e32 v7, vcc, s14, v7
	v_addc_co_u32_e32 v8, vcc, v8, v3, vcc
	global_store_dwordx2 v[7:8], v[14:15], off
	s_waitcnt vmcnt(0)
	global_atomic_cmpswap_x2 v[5:6], v11, v[12:15], s[8:9] offset:32 glc
	s_waitcnt vmcnt(0)
	v_cmp_ne_u64_e32 vcc, v[5:6], v[14:15]
	s_and_saveexec_b64 s[14:15], vcc
	s_cbranch_execz .LBB3_334
; %bb.332:
	s_mov_b64 s[16:17], 0
.LBB3_333:                              ; =>This Inner Loop Header: Depth=1
	s_sleep 1
	global_store_dwordx2 v[7:8], v[5:6], off
	v_mov_b32_e32 v3, s10
	v_mov_b32_e32 v4, s11
	s_waitcnt vmcnt(0)
	global_atomic_cmpswap_x2 v[3:4], v11, v[3:6], s[8:9] offset:32 glc
	s_waitcnt vmcnt(0)
	v_cmp_eq_u64_e32 vcc, v[3:4], v[5:6]
	v_mov_b32_e32 v6, v4
	s_or_b64 s[16:17], vcc, s[16:17]
	v_mov_b32_e32 v5, v3
	s_andn2_b64 exec, exec, s[16:17]
	s_cbranch_execnz .LBB3_333
.LBB3_334:
	s_or_b64 exec, exec, s[14:15]
	v_mov_b32_e32 v6, 0
	global_load_dwordx2 v[3:4], v6, s[8:9] offset:16
	s_mov_b64 s[14:15], exec
	v_mbcnt_lo_u32_b32 v5, s14, 0
	v_mbcnt_hi_u32_b32 v5, s15, v5
	v_cmp_eq_u32_e32 vcc, 0, v5
	s_and_saveexec_b64 s[16:17], vcc
	s_cbranch_execz .LBB3_336
; %bb.335:
	s_bcnt1_i32_b64 s14, s[14:15]
	v_mov_b32_e32 v5, s14
	s_waitcnt vmcnt(0)
	global_atomic_add_x2 v[3:4], v[5:6], off offset:8
.LBB3_336:
	s_or_b64 exec, exec, s[16:17]
	s_waitcnt vmcnt(0)
	global_load_dwordx2 v[5:6], v[3:4], off offset:16
	s_waitcnt vmcnt(0)
	v_cmp_eq_u64_e32 vcc, 0, v[5:6]
	s_cbranch_vccnz .LBB3_338
; %bb.337:
	global_load_dword v3, v[3:4], off offset:24
	v_mov_b32_e32 v4, 0
	s_waitcnt vmcnt(0)
	v_readfirstlane_b32 s14, v3
	s_and_b32 m0, s14, 0xffffff
	global_store_dwordx2 v[5:6], v[3:4], off
	s_sendmsg sendmsg(MSG_INTERRUPT)
.LBB3_338:
	s_or_b64 exec, exec, s[12:13]
	s_branch .LBB3_342
.LBB3_339:                              ;   in Loop: Header=BB3_342 Depth=1
	s_or_b64 exec, exec, s[12:13]
	v_readfirstlane_b32 s12, v3
	s_cmp_eq_u32 s12, 0
	s_cbranch_scc1 .LBB3_341
; %bb.340:                              ;   in Loop: Header=BB3_342 Depth=1
	s_sleep 1
	s_cbranch_execnz .LBB3_342
	s_branch .LBB3_344
.LBB3_341:
	s_branch .LBB3_344
.LBB3_342:                              ; =>This Inner Loop Header: Depth=1
	v_mov_b32_e32 v3, 1
	s_and_saveexec_b64 s[12:13], s[4:5]
	s_cbranch_execz .LBB3_339
; %bb.343:                              ;   in Loop: Header=BB3_342 Depth=1
	global_load_dword v3, v[0:1], off offset:20 glc
	s_waitcnt vmcnt(0)
	buffer_wbinvl1_vol
	v_and_b32_e32 v3, 1, v3
	s_branch .LBB3_339
.LBB3_344:
	global_load_dwordx2 v[5:6], v[9:10], off
	s_and_saveexec_b64 s[12:13], s[4:5]
	s_cbranch_execz .LBB3_347
; %bb.345:
	v_mov_b32_e32 v3, 0
	global_load_dwordx2 v[0:1], v3, s[8:9] offset:40
	global_load_dwordx2 v[11:12], v3, s[8:9] offset:24 glc
	global_load_dwordx2 v[7:8], v3, s[8:9]
	s_waitcnt vmcnt(2)
	v_readfirstlane_b32 s14, v0
	v_readfirstlane_b32 s15, v1
	s_add_u32 s16, s14, 1
	s_addc_u32 s17, s15, 0
	s_add_u32 s4, s16, s10
	s_addc_u32 s5, s17, s11
	s_cmp_eq_u64 s[4:5], 0
	s_cselect_b32 s5, s17, s5
	s_cselect_b32 s4, s16, s4
	s_and_b64 s[10:11], s[4:5], s[14:15]
	s_mul_i32 s11, s11, 24
	s_mul_hi_u32 s14, s10, 24
	s_mul_i32 s10, s10, 24
	s_add_i32 s11, s14, s11
	v_mov_b32_e32 v1, s11
	s_waitcnt vmcnt(0)
	v_add_co_u32_e32 v0, vcc, s10, v7
	v_addc_co_u32_e32 v1, vcc, v8, v1, vcc
	v_mov_b32_e32 v9, s4
	global_store_dwordx2 v[0:1], v[11:12], off
	v_mov_b32_e32 v10, s5
	s_waitcnt vmcnt(0)
	global_atomic_cmpswap_x2 v[9:10], v3, v[9:12], s[8:9] offset:24 glc
	s_mov_b64 s[10:11], 0
	s_waitcnt vmcnt(0)
	v_cmp_ne_u64_e32 vcc, v[9:10], v[11:12]
	s_and_b64 exec, exec, vcc
	s_cbranch_execz .LBB3_347
.LBB3_346:                              ; =>This Inner Loop Header: Depth=1
	s_sleep 1
	global_store_dwordx2 v[0:1], v[9:10], off
	v_mov_b32_e32 v7, s4
	v_mov_b32_e32 v8, s5
	s_waitcnt vmcnt(0)
	global_atomic_cmpswap_x2 v[7:8], v3, v[7:10], s[8:9] offset:24 glc
	s_waitcnt vmcnt(0)
	v_cmp_eq_u64_e32 vcc, v[7:8], v[9:10]
	v_mov_b32_e32 v10, v8
	s_or_b64 s[10:11], vcc, s[10:11]
	v_mov_b32_e32 v9, v7
	s_andn2_b64 exec, exec, s[10:11]
	s_cbranch_execnz .LBB3_346
.LBB3_347:
	s_or_b64 exec, exec, s[12:13]
.LBB3_348:
	v_readfirstlane_b32 s4, v33
	v_mov_b32_e32 v0, 0
	v_mov_b32_e32 v1, 0
	v_cmp_eq_u32_e64 s[4:5], s4, v33
	s_and_saveexec_b64 s[10:11], s[4:5]
	s_cbranch_execz .LBB3_354
; %bb.349:
	s_waitcnt vmcnt(0)
	v_mov_b32_e32 v3, 0
	global_load_dwordx2 v[9:10], v3, s[8:9] offset:24 glc
	s_waitcnt vmcnt(0)
	buffer_wbinvl1_vol
	global_load_dwordx2 v[0:1], v3, s[8:9] offset:40
	global_load_dwordx2 v[7:8], v3, s[8:9]
	s_waitcnt vmcnt(1)
	v_and_b32_e32 v0, v0, v9
	v_and_b32_e32 v1, v1, v10
	v_mul_lo_u32 v1, v1, 24
	v_mul_hi_u32 v4, v0, 24
	v_mul_lo_u32 v0, v0, 24
	v_add_u32_e32 v1, v4, v1
	s_waitcnt vmcnt(0)
	v_add_co_u32_e32 v0, vcc, v7, v0
	v_addc_co_u32_e32 v1, vcc, v8, v1, vcc
	global_load_dwordx2 v[7:8], v[0:1], off glc
	s_waitcnt vmcnt(0)
	global_atomic_cmpswap_x2 v[0:1], v3, v[7:10], s[8:9] offset:24 glc
	s_waitcnt vmcnt(0)
	buffer_wbinvl1_vol
	v_cmp_ne_u64_e32 vcc, v[0:1], v[9:10]
	s_and_saveexec_b64 s[12:13], vcc
	s_cbranch_execz .LBB3_353
; %bb.350:
	s_mov_b64 s[14:15], 0
.LBB3_351:                              ; =>This Inner Loop Header: Depth=1
	s_sleep 1
	global_load_dwordx2 v[7:8], v3, s[8:9] offset:40
	global_load_dwordx2 v[11:12], v3, s[8:9]
	v_mov_b32_e32 v10, v1
	v_mov_b32_e32 v9, v0
	s_waitcnt vmcnt(1)
	v_and_b32_e32 v0, v7, v9
	s_waitcnt vmcnt(0)
	v_mad_u64_u32 v[0:1], s[16:17], v0, 24, v[11:12]
	v_and_b32_e32 v4, v8, v10
	v_mad_u64_u32 v[7:8], s[16:17], v4, 24, v[1:2]
	v_mov_b32_e32 v1, v7
	global_load_dwordx2 v[7:8], v[0:1], off glc
	s_waitcnt vmcnt(0)
	global_atomic_cmpswap_x2 v[0:1], v3, v[7:10], s[8:9] offset:24 glc
	s_waitcnt vmcnt(0)
	buffer_wbinvl1_vol
	v_cmp_eq_u64_e32 vcc, v[0:1], v[9:10]
	s_or_b64 s[14:15], vcc, s[14:15]
	s_andn2_b64 exec, exec, s[14:15]
	s_cbranch_execnz .LBB3_351
; %bb.352:
	s_or_b64 exec, exec, s[14:15]
.LBB3_353:
	s_or_b64 exec, exec, s[12:13]
.LBB3_354:
	s_or_b64 exec, exec, s[10:11]
	v_mov_b32_e32 v8, 0
	global_load_dwordx2 v[3:4], v8, s[8:9] offset:40
	global_load_dwordx4 v[9:12], v8, s[8:9]
	v_readfirstlane_b32 s11, v1
	v_readfirstlane_b32 s10, v0
	s_mov_b64 s[12:13], exec
	s_waitcnt vmcnt(1)
	v_readfirstlane_b32 s14, v3
	v_readfirstlane_b32 s15, v4
	s_and_b64 s[14:15], s[14:15], s[10:11]
	s_mul_i32 s16, s15, 24
	s_mul_hi_u32 s17, s14, 24
	s_mul_i32 s18, s14, 24
	s_add_i32 s16, s17, s16
	v_mov_b32_e32 v1, s16
	s_waitcnt vmcnt(0)
	v_add_co_u32_e32 v0, vcc, s18, v9
	v_addc_co_u32_e32 v1, vcc, v10, v1, vcc
	s_and_saveexec_b64 s[16:17], s[4:5]
	s_cbranch_execz .LBB3_356
; %bb.355:
	v_mov_b32_e32 v14, s13
	v_mov_b32_e32 v13, s12
	;; [unrolled: 1-line block ×4, first 2 shown]
	global_store_dwordx4 v[0:1], v[13:16], off offset:8
.LBB3_356:
	s_or_b64 exec, exec, s[16:17]
	s_lshl_b64 s[12:13], s[14:15], 12
	v_mov_b32_e32 v3, s13
	v_add_co_u32_e32 v4, vcc, s12, v11
	v_addc_co_u32_e32 v3, vcc, v12, v3, vcc
	s_movk_i32 s12, 0xff1f
	v_and_or_b32 v5, v5, s12, 32
	v_add_co_u32_e32 v11, vcc, v4, v32
	s_mov_b32 s12, 0
	v_mov_b32_e32 v7, 15
	v_readfirstlane_b32 s16, v4
	v_readfirstlane_b32 s17, v3
	v_addc_co_u32_e32 v12, vcc, 0, v3, vcc
	s_mov_b32 s13, s12
	s_mov_b32 s14, s12
	;; [unrolled: 1-line block ×3, first 2 shown]
	s_nop 0
	global_store_dwordx4 v32, v[5:8], s[16:17]
	v_mov_b32_e32 v3, s12
	v_mov_b32_e32 v4, s13
	;; [unrolled: 1-line block ×4, first 2 shown]
	global_store_dwordx4 v32, v[3:6], s[16:17] offset:16
	global_store_dwordx4 v32, v[3:6], s[16:17] offset:32
	;; [unrolled: 1-line block ×3, first 2 shown]
	s_and_saveexec_b64 s[12:13], s[4:5]
	s_cbranch_execz .LBB3_364
; %bb.357:
	v_mov_b32_e32 v13, 0
	global_load_dwordx2 v[16:17], v13, s[8:9] offset:32 glc
	global_load_dwordx2 v[3:4], v13, s[8:9] offset:40
	v_mov_b32_e32 v14, s10
	v_mov_b32_e32 v15, s11
	s_waitcnt vmcnt(0)
	v_readfirstlane_b32 s14, v3
	v_readfirstlane_b32 s15, v4
	s_and_b64 s[14:15], s[14:15], s[10:11]
	s_mul_i32 s15, s15, 24
	s_mul_hi_u32 s16, s14, 24
	s_mul_i32 s14, s14, 24
	s_add_i32 s15, s16, s15
	v_mov_b32_e32 v3, s15
	v_add_co_u32_e32 v7, vcc, s14, v9
	v_addc_co_u32_e32 v8, vcc, v10, v3, vcc
	global_store_dwordx2 v[7:8], v[16:17], off
	s_waitcnt vmcnt(0)
	global_atomic_cmpswap_x2 v[5:6], v13, v[14:17], s[8:9] offset:32 glc
	s_waitcnt vmcnt(0)
	v_cmp_ne_u64_e32 vcc, v[5:6], v[16:17]
	s_and_saveexec_b64 s[14:15], vcc
	s_cbranch_execz .LBB3_360
; %bb.358:
	s_mov_b64 s[16:17], 0
.LBB3_359:                              ; =>This Inner Loop Header: Depth=1
	s_sleep 1
	global_store_dwordx2 v[7:8], v[5:6], off
	v_mov_b32_e32 v3, s10
	v_mov_b32_e32 v4, s11
	s_waitcnt vmcnt(0)
	global_atomic_cmpswap_x2 v[3:4], v13, v[3:6], s[8:9] offset:32 glc
	s_waitcnt vmcnt(0)
	v_cmp_eq_u64_e32 vcc, v[3:4], v[5:6]
	v_mov_b32_e32 v6, v4
	s_or_b64 s[16:17], vcc, s[16:17]
	v_mov_b32_e32 v5, v3
	s_andn2_b64 exec, exec, s[16:17]
	s_cbranch_execnz .LBB3_359
.LBB3_360:
	s_or_b64 exec, exec, s[14:15]
	v_mov_b32_e32 v6, 0
	global_load_dwordx2 v[3:4], v6, s[8:9] offset:16
	s_mov_b64 s[14:15], exec
	v_mbcnt_lo_u32_b32 v5, s14, 0
	v_mbcnt_hi_u32_b32 v5, s15, v5
	v_cmp_eq_u32_e32 vcc, 0, v5
	s_and_saveexec_b64 s[16:17], vcc
	s_cbranch_execz .LBB3_362
; %bb.361:
	s_bcnt1_i32_b64 s14, s[14:15]
	v_mov_b32_e32 v5, s14
	s_waitcnt vmcnt(0)
	global_atomic_add_x2 v[3:4], v[5:6], off offset:8
.LBB3_362:
	s_or_b64 exec, exec, s[16:17]
	s_waitcnt vmcnt(0)
	global_load_dwordx2 v[5:6], v[3:4], off offset:16
	s_waitcnt vmcnt(0)
	v_cmp_eq_u64_e32 vcc, 0, v[5:6]
	s_cbranch_vccnz .LBB3_364
; %bb.363:
	global_load_dword v3, v[3:4], off offset:24
	v_mov_b32_e32 v4, 0
	s_waitcnt vmcnt(0)
	v_readfirstlane_b32 s14, v3
	s_and_b32 m0, s14, 0xffffff
	global_store_dwordx2 v[5:6], v[3:4], off
	s_sendmsg sendmsg(MSG_INTERRUPT)
.LBB3_364:
	s_or_b64 exec, exec, s[12:13]
	s_branch .LBB3_368
.LBB3_365:                              ;   in Loop: Header=BB3_368 Depth=1
	s_or_b64 exec, exec, s[12:13]
	v_readfirstlane_b32 s12, v3
	s_cmp_eq_u32 s12, 0
	s_cbranch_scc1 .LBB3_367
; %bb.366:                              ;   in Loop: Header=BB3_368 Depth=1
	s_sleep 1
	s_cbranch_execnz .LBB3_368
	s_branch .LBB3_370
.LBB3_367:
	s_branch .LBB3_370
.LBB3_368:                              ; =>This Inner Loop Header: Depth=1
	v_mov_b32_e32 v3, 1
	s_and_saveexec_b64 s[12:13], s[4:5]
	s_cbranch_execz .LBB3_365
; %bb.369:                              ;   in Loop: Header=BB3_368 Depth=1
	global_load_dword v3, v[0:1], off offset:20 glc
	s_waitcnt vmcnt(0)
	buffer_wbinvl1_vol
	v_and_b32_e32 v3, 1, v3
	s_branch .LBB3_365
.LBB3_370:
	global_load_dwordx2 v[0:1], v[11:12], off
	s_and_saveexec_b64 s[12:13], s[4:5]
	s_cbranch_execz .LBB3_373
; %bb.371:
	v_mov_b32_e32 v9, 0
	global_load_dwordx2 v[3:4], v9, s[8:9] offset:40
	global_load_dwordx2 v[12:13], v9, s[8:9] offset:24 glc
	global_load_dwordx2 v[5:6], v9, s[8:9]
	s_waitcnt vmcnt(2)
	v_readfirstlane_b32 s14, v3
	v_readfirstlane_b32 s15, v4
	s_add_u32 s16, s14, 1
	s_addc_u32 s17, s15, 0
	s_add_u32 s4, s16, s10
	s_addc_u32 s5, s17, s11
	s_cmp_eq_u64 s[4:5], 0
	s_cselect_b32 s5, s17, s5
	s_cselect_b32 s4, s16, s4
	s_and_b64 s[10:11], s[4:5], s[14:15]
	s_mul_i32 s11, s11, 24
	s_mul_hi_u32 s14, s10, 24
	s_mul_i32 s10, s10, 24
	s_add_i32 s11, s14, s11
	v_mov_b32_e32 v3, s11
	s_waitcnt vmcnt(0)
	v_add_co_u32_e32 v7, vcc, s10, v5
	v_addc_co_u32_e32 v8, vcc, v6, v3, vcc
	v_mov_b32_e32 v10, s4
	global_store_dwordx2 v[7:8], v[12:13], off
	v_mov_b32_e32 v11, s5
	s_waitcnt vmcnt(0)
	global_atomic_cmpswap_x2 v[5:6], v9, v[10:13], s[8:9] offset:24 glc
	s_mov_b64 s[10:11], 0
	s_waitcnt vmcnt(0)
	v_cmp_ne_u64_e32 vcc, v[5:6], v[12:13]
	s_and_b64 exec, exec, vcc
	s_cbranch_execz .LBB3_373
.LBB3_372:                              ; =>This Inner Loop Header: Depth=1
	s_sleep 1
	global_store_dwordx2 v[7:8], v[5:6], off
	v_mov_b32_e32 v3, s4
	v_mov_b32_e32 v4, s5
	s_waitcnt vmcnt(0)
	global_atomic_cmpswap_x2 v[3:4], v9, v[3:6], s[8:9] offset:24 glc
	s_waitcnt vmcnt(0)
	v_cmp_eq_u64_e32 vcc, v[3:4], v[5:6]
	v_mov_b32_e32 v6, v4
	s_or_b64 s[10:11], vcc, s[10:11]
	v_mov_b32_e32 v5, v3
	s_andn2_b64 exec, exec, s[10:11]
	s_cbranch_execnz .LBB3_372
.LBB3_373:
	s_or_b64 exec, exec, s[12:13]
	v_readfirstlane_b32 s4, v33
	v_mov_b32_e32 v8, 0
	v_mov_b32_e32 v9, 0
	v_cmp_eq_u32_e64 s[4:5], s4, v33
	s_and_saveexec_b64 s[10:11], s[4:5]
	s_cbranch_execz .LBB3_379
; %bb.374:
	v_mov_b32_e32 v3, 0
	global_load_dwordx2 v[6:7], v3, s[8:9] offset:24 glc
	s_waitcnt vmcnt(0)
	buffer_wbinvl1_vol
	global_load_dwordx2 v[4:5], v3, s[8:9] offset:40
	global_load_dwordx2 v[8:9], v3, s[8:9]
	s_waitcnt vmcnt(1)
	v_and_b32_e32 v4, v4, v6
	v_and_b32_e32 v5, v5, v7
	v_mul_lo_u32 v5, v5, 24
	v_mul_hi_u32 v10, v4, 24
	v_mul_lo_u32 v4, v4, 24
	v_add_u32_e32 v5, v10, v5
	s_waitcnt vmcnt(0)
	v_add_co_u32_e32 v4, vcc, v8, v4
	v_addc_co_u32_e32 v5, vcc, v9, v5, vcc
	global_load_dwordx2 v[4:5], v[4:5], off glc
	s_waitcnt vmcnt(0)
	global_atomic_cmpswap_x2 v[8:9], v3, v[4:7], s[8:9] offset:24 glc
	s_waitcnt vmcnt(0)
	buffer_wbinvl1_vol
	v_cmp_ne_u64_e32 vcc, v[8:9], v[6:7]
	s_and_saveexec_b64 s[12:13], vcc
	s_cbranch_execz .LBB3_378
; %bb.375:
	s_mov_b64 s[14:15], 0
.LBB3_376:                              ; =>This Inner Loop Header: Depth=1
	s_sleep 1
	global_load_dwordx2 v[4:5], v3, s[8:9] offset:40
	global_load_dwordx2 v[10:11], v3, s[8:9]
	v_mov_b32_e32 v6, v8
	v_mov_b32_e32 v7, v9
	s_waitcnt vmcnt(1)
	v_and_b32_e32 v4, v4, v6
	s_waitcnt vmcnt(0)
	v_mad_u64_u32 v[8:9], s[16:17], v4, 24, v[10:11]
	v_and_b32_e32 v5, v5, v7
	v_mov_b32_e32 v4, v9
	v_mad_u64_u32 v[4:5], s[16:17], v5, 24, v[4:5]
	v_mov_b32_e32 v9, v4
	global_load_dwordx2 v[4:5], v[8:9], off glc
	s_waitcnt vmcnt(0)
	global_atomic_cmpswap_x2 v[8:9], v3, v[4:7], s[8:9] offset:24 glc
	s_waitcnt vmcnt(0)
	buffer_wbinvl1_vol
	v_cmp_eq_u64_e32 vcc, v[8:9], v[6:7]
	s_or_b64 s[14:15], vcc, s[14:15]
	s_andn2_b64 exec, exec, s[14:15]
	s_cbranch_execnz .LBB3_376
; %bb.377:
	s_or_b64 exec, exec, s[14:15]
.LBB3_378:
	s_or_b64 exec, exec, s[12:13]
.LBB3_379:
	s_or_b64 exec, exec, s[10:11]
	v_mov_b32_e32 v3, 0
	global_load_dwordx2 v[10:11], v3, s[8:9] offset:40
	global_load_dwordx4 v[4:7], v3, s[8:9]
	v_readfirstlane_b32 s11, v9
	v_readfirstlane_b32 s10, v8
	s_mov_b64 s[12:13], exec
	s_waitcnt vmcnt(1)
	v_readfirstlane_b32 s14, v10
	v_readfirstlane_b32 s15, v11
	s_and_b64 s[14:15], s[14:15], s[10:11]
	s_mul_i32 s16, s15, 24
	s_mul_hi_u32 s17, s14, 24
	s_mul_i32 s18, s14, 24
	s_add_i32 s16, s17, s16
	v_mov_b32_e32 v9, s16
	s_waitcnt vmcnt(0)
	v_add_co_u32_e32 v8, vcc, s18, v4
	v_addc_co_u32_e32 v9, vcc, v5, v9, vcc
	s_and_saveexec_b64 s[16:17], s[4:5]
	s_cbranch_execz .LBB3_381
; %bb.380:
	v_mov_b32_e32 v10, s12
	v_mov_b32_e32 v11, s13
	;; [unrolled: 1-line block ×4, first 2 shown]
	global_store_dwordx4 v[8:9], v[10:13], off offset:8
.LBB3_381:
	s_or_b64 exec, exec, s[16:17]
	s_lshl_b64 s[12:13], s[14:15], 12
	v_add_co_u32_e32 v6, vcc, s12, v6
	s_movk_i32 s12, 0xff1d
	v_mov_b32_e32 v10, s13
	v_and_or_b32 v0, v0, s12, 34
	s_mov_b32 s12, 0
	v_addc_co_u32_e32 v7, vcc, v7, v10, vcc
	s_mov_b32 s13, s12
	s_mov_b32 s14, s12
	s_mov_b32 s15, s12
	v_mov_b32_e32 v10, s12
	v_readfirstlane_b32 s16, v6
	v_readfirstlane_b32 s17, v7
	v_mov_b32_e32 v11, s13
	v_mov_b32_e32 v12, s14
	;; [unrolled: 1-line block ×3, first 2 shown]
	s_nop 1
	global_store_dwordx4 v32, v[0:3], s[16:17]
	global_store_dwordx4 v32, v[10:13], s[16:17] offset:16
	global_store_dwordx4 v32, v[10:13], s[16:17] offset:32
	;; [unrolled: 1-line block ×3, first 2 shown]
	s_and_saveexec_b64 s[12:13], s[4:5]
	s_cbranch_execz .LBB3_389
; %bb.382:
	v_mov_b32_e32 v7, 0
	global_load_dwordx2 v[12:13], v7, s[8:9] offset:32 glc
	global_load_dwordx2 v[0:1], v7, s[8:9] offset:40
	v_mov_b32_e32 v10, s10
	v_mov_b32_e32 v11, s11
	s_waitcnt vmcnt(0)
	v_readfirstlane_b32 s14, v0
	v_readfirstlane_b32 s15, v1
	s_and_b64 s[14:15], s[14:15], s[10:11]
	s_mul_i32 s15, s15, 24
	s_mul_hi_u32 s16, s14, 24
	s_mul_i32 s14, s14, 24
	s_add_i32 s15, s16, s15
	v_mov_b32_e32 v1, s15
	v_add_co_u32_e32 v0, vcc, s14, v4
	v_addc_co_u32_e32 v1, vcc, v5, v1, vcc
	global_store_dwordx2 v[0:1], v[12:13], off
	s_waitcnt vmcnt(0)
	global_atomic_cmpswap_x2 v[5:6], v7, v[10:13], s[8:9] offset:32 glc
	s_waitcnt vmcnt(0)
	v_cmp_ne_u64_e32 vcc, v[5:6], v[12:13]
	s_and_saveexec_b64 s[14:15], vcc
	s_cbranch_execz .LBB3_385
; %bb.383:
	s_mov_b64 s[16:17], 0
.LBB3_384:                              ; =>This Inner Loop Header: Depth=1
	s_sleep 1
	global_store_dwordx2 v[0:1], v[5:6], off
	v_mov_b32_e32 v3, s10
	v_mov_b32_e32 v4, s11
	s_waitcnt vmcnt(0)
	global_atomic_cmpswap_x2 v[3:4], v7, v[3:6], s[8:9] offset:32 glc
	s_waitcnt vmcnt(0)
	v_cmp_eq_u64_e32 vcc, v[3:4], v[5:6]
	v_mov_b32_e32 v6, v4
	s_or_b64 s[16:17], vcc, s[16:17]
	v_mov_b32_e32 v5, v3
	s_andn2_b64 exec, exec, s[16:17]
	s_cbranch_execnz .LBB3_384
.LBB3_385:
	s_or_b64 exec, exec, s[14:15]
	v_mov_b32_e32 v4, 0
	global_load_dwordx2 v[0:1], v4, s[8:9] offset:16
	s_mov_b64 s[14:15], exec
	v_mbcnt_lo_u32_b32 v3, s14, 0
	v_mbcnt_hi_u32_b32 v3, s15, v3
	v_cmp_eq_u32_e32 vcc, 0, v3
	s_and_saveexec_b64 s[16:17], vcc
	s_cbranch_execz .LBB3_387
; %bb.386:
	s_bcnt1_i32_b64 s14, s[14:15]
	v_mov_b32_e32 v3, s14
	s_waitcnt vmcnt(0)
	global_atomic_add_x2 v[0:1], v[3:4], off offset:8
.LBB3_387:
	s_or_b64 exec, exec, s[16:17]
	s_waitcnt vmcnt(0)
	global_load_dwordx2 v[3:4], v[0:1], off offset:16
	s_waitcnt vmcnt(0)
	v_cmp_eq_u64_e32 vcc, 0, v[3:4]
	s_cbranch_vccnz .LBB3_389
; %bb.388:
	global_load_dword v0, v[0:1], off offset:24
	v_mov_b32_e32 v1, 0
	s_waitcnt vmcnt(0)
	v_readfirstlane_b32 s14, v0
	s_and_b32 m0, s14, 0xffffff
	global_store_dwordx2 v[3:4], v[0:1], off
	s_sendmsg sendmsg(MSG_INTERRUPT)
.LBB3_389:
	s_or_b64 exec, exec, s[12:13]
	s_branch .LBB3_393
.LBB3_390:                              ;   in Loop: Header=BB3_393 Depth=1
	s_or_b64 exec, exec, s[12:13]
	v_readfirstlane_b32 s12, v0
	s_cmp_eq_u32 s12, 0
	s_cbranch_scc1 .LBB3_392
; %bb.391:                              ;   in Loop: Header=BB3_393 Depth=1
	s_sleep 1
	s_cbranch_execnz .LBB3_393
	s_branch .LBB3_395
.LBB3_392:
	s_branch .LBB3_395
.LBB3_393:                              ; =>This Inner Loop Header: Depth=1
	v_mov_b32_e32 v0, 1
	s_and_saveexec_b64 s[12:13], s[4:5]
	s_cbranch_execz .LBB3_390
; %bb.394:                              ;   in Loop: Header=BB3_393 Depth=1
	global_load_dword v0, v[8:9], off offset:20 glc
	s_waitcnt vmcnt(0)
	buffer_wbinvl1_vol
	v_and_b32_e32 v0, 1, v0
	s_branch .LBB3_390
.LBB3_395:
	s_and_saveexec_b64 s[12:13], s[4:5]
	s_cbranch_execz .LBB3_398
; %bb.396:
	v_mov_b32_e32 v7, 0
	global_load_dwordx2 v[0:1], v7, s[8:9] offset:40
	global_load_dwordx2 v[10:11], v7, s[8:9] offset:24 glc
	global_load_dwordx2 v[3:4], v7, s[8:9]
	s_waitcnt vmcnt(2)
	v_readfirstlane_b32 s14, v0
	v_readfirstlane_b32 s15, v1
	s_add_u32 s16, s14, 1
	s_addc_u32 s17, s15, 0
	s_add_u32 s4, s16, s10
	s_addc_u32 s5, s17, s11
	s_cmp_eq_u64 s[4:5], 0
	s_cselect_b32 s5, s17, s5
	s_cselect_b32 s4, s16, s4
	s_and_b64 s[10:11], s[4:5], s[14:15]
	s_mul_i32 s11, s11, 24
	s_mul_hi_u32 s14, s10, 24
	s_mul_i32 s10, s10, 24
	s_add_i32 s11, s14, s11
	v_mov_b32_e32 v1, s11
	s_waitcnt vmcnt(0)
	v_add_co_u32_e32 v0, vcc, s10, v3
	v_addc_co_u32_e32 v1, vcc, v4, v1, vcc
	v_mov_b32_e32 v8, s4
	global_store_dwordx2 v[0:1], v[10:11], off
	v_mov_b32_e32 v9, s5
	s_waitcnt vmcnt(0)
	global_atomic_cmpswap_x2 v[5:6], v7, v[8:11], s[8:9] offset:24 glc
	s_mov_b64 s[10:11], 0
	s_waitcnt vmcnt(0)
	v_cmp_ne_u64_e32 vcc, v[5:6], v[10:11]
	s_and_b64 exec, exec, vcc
	s_cbranch_execz .LBB3_398
.LBB3_397:                              ; =>This Inner Loop Header: Depth=1
	s_sleep 1
	global_store_dwordx2 v[0:1], v[5:6], off
	v_mov_b32_e32 v3, s4
	v_mov_b32_e32 v4, s5
	s_waitcnt vmcnt(0)
	global_atomic_cmpswap_x2 v[3:4], v7, v[3:6], s[8:9] offset:24 glc
	s_waitcnt vmcnt(0)
	v_cmp_eq_u64_e32 vcc, v[3:4], v[5:6]
	v_mov_b32_e32 v6, v4
	s_or_b64 s[10:11], vcc, s[10:11]
	v_mov_b32_e32 v5, v3
	s_andn2_b64 exec, exec, s[10:11]
	s_cbranch_execnz .LBB3_397
.LBB3_398:
	s_or_b64 exec, exec, s[12:13]
	v_lshrrev_b32_e32 v0, 2, v29
	v_and_b32_e32 v0, 0x3ffffffc, v0
	global_store_dword v0, v2, s[6:7]
.LBB3_399:
	s_endpgm
.LBB3_400:
	s_cbranch_execz .LBB3_203
	s_branch .LBB3_204
	.section	.rodata,"a",@progbits
	.p2align	6, 0x0
	.amdhsa_kernel _ZL32kernel_cg_group_partition_staticILj16EEvPi19TiledGroupShflTests
		.amdhsa_group_segment_fixed_size 0
		.amdhsa_private_segment_fixed_size 12
		.amdhsa_kernarg_size 272
		.amdhsa_user_sgpr_count 8
		.amdhsa_user_sgpr_private_segment_buffer 1
		.amdhsa_user_sgpr_dispatch_ptr 0
		.amdhsa_user_sgpr_queue_ptr 0
		.amdhsa_user_sgpr_kernarg_segment_ptr 1
		.amdhsa_user_sgpr_dispatch_id 0
		.amdhsa_user_sgpr_flat_scratch_init 1
		.amdhsa_user_sgpr_private_segment_size 0
		.amdhsa_uses_dynamic_stack 0
		.amdhsa_system_sgpr_private_segment_wavefront_offset 1
		.amdhsa_system_sgpr_workgroup_id_x 1
		.amdhsa_system_sgpr_workgroup_id_y 0
		.amdhsa_system_sgpr_workgroup_id_z 0
		.amdhsa_system_sgpr_workgroup_info 0
		.amdhsa_system_vgpr_workitem_id 2
		.amdhsa_next_free_vgpr 35
		.amdhsa_next_free_sgpr 32
		.amdhsa_reserve_vcc 1
		.amdhsa_reserve_flat_scratch 1
		.amdhsa_float_round_mode_32 0
		.amdhsa_float_round_mode_16_64 0
		.amdhsa_float_denorm_mode_32 3
		.amdhsa_float_denorm_mode_16_64 3
		.amdhsa_dx10_clamp 1
		.amdhsa_ieee_mode 1
		.amdhsa_fp16_overflow 0
		.amdhsa_exception_fp_ieee_invalid_op 0
		.amdhsa_exception_fp_denorm_src 0
		.amdhsa_exception_fp_ieee_div_zero 0
		.amdhsa_exception_fp_ieee_overflow 0
		.amdhsa_exception_fp_ieee_underflow 0
		.amdhsa_exception_fp_ieee_inexact 0
		.amdhsa_exception_int_div_zero 0
	.end_amdhsa_kernel
	.section	.text._ZL32kernel_cg_group_partition_staticILj16EEvPi19TiledGroupShflTests,"axG",@progbits,_ZL32kernel_cg_group_partition_staticILj16EEvPi19TiledGroupShflTests,comdat
.Lfunc_end3:
	.size	_ZL32kernel_cg_group_partition_staticILj16EEvPi19TiledGroupShflTests, .Lfunc_end3-_ZL32kernel_cg_group_partition_staticILj16EEvPi19TiledGroupShflTests
                                        ; -- End function
	.set _ZL32kernel_cg_group_partition_staticILj16EEvPi19TiledGroupShflTests.num_vgpr, 35
	.set _ZL32kernel_cg_group_partition_staticILj16EEvPi19TiledGroupShflTests.num_agpr, 0
	.set _ZL32kernel_cg_group_partition_staticILj16EEvPi19TiledGroupShflTests.numbered_sgpr, 32
	.set _ZL32kernel_cg_group_partition_staticILj16EEvPi19TiledGroupShflTests.num_named_barrier, 0
	.set _ZL32kernel_cg_group_partition_staticILj16EEvPi19TiledGroupShflTests.private_seg_size, 12
	.set _ZL32kernel_cg_group_partition_staticILj16EEvPi19TiledGroupShflTests.uses_vcc, 1
	.set _ZL32kernel_cg_group_partition_staticILj16EEvPi19TiledGroupShflTests.uses_flat_scratch, 1
	.set _ZL32kernel_cg_group_partition_staticILj16EEvPi19TiledGroupShflTests.has_dyn_sized_stack, 0
	.set _ZL32kernel_cg_group_partition_staticILj16EEvPi19TiledGroupShflTests.has_recursion, 0
	.set _ZL32kernel_cg_group_partition_staticILj16EEvPi19TiledGroupShflTests.has_indirect_call, 0
	.section	.AMDGPU.csdata,"",@progbits
; Kernel info:
; codeLenInByte = 15140
; TotalNumSgprs: 38
; NumVgprs: 35
; ScratchSize: 12
; MemoryBound: 0
; FloatMode: 240
; IeeeMode: 1
; LDSByteSize: 0 bytes/workgroup (compile time only)
; SGPRBlocks: 4
; VGPRBlocks: 8
; NumSGPRsForWavesPerEU: 38
; NumVGPRsForWavesPerEU: 35
; Occupancy: 7
; WaveLimiterHint : 1
; COMPUTE_PGM_RSRC2:SCRATCH_EN: 1
; COMPUTE_PGM_RSRC2:USER_SGPR: 8
; COMPUTE_PGM_RSRC2:TRAP_HANDLER: 0
; COMPUTE_PGM_RSRC2:TGID_X_EN: 1
; COMPUTE_PGM_RSRC2:TGID_Y_EN: 0
; COMPUTE_PGM_RSRC2:TGID_Z_EN: 0
; COMPUTE_PGM_RSRC2:TIDIG_COMP_CNT: 2
	.section	.text._ZL32kernel_cg_group_partition_staticILj32EEvPi19TiledGroupShflTests,"axG",@progbits,_ZL32kernel_cg_group_partition_staticILj32EEvPi19TiledGroupShflTests,comdat
	.globl	_ZL32kernel_cg_group_partition_staticILj32EEvPi19TiledGroupShflTests ; -- Begin function _ZL32kernel_cg_group_partition_staticILj32EEvPi19TiledGroupShflTests
	.p2align	8
	.type	_ZL32kernel_cg_group_partition_staticILj32EEvPi19TiledGroupShflTests,@function
_ZL32kernel_cg_group_partition_staticILj32EEvPi19TiledGroupShflTests: ; @_ZL32kernel_cg_group_partition_staticILj32EEvPi19TiledGroupShflTests
; %bb.0:
	s_add_u32 flat_scratch_lo, s6, s9
	s_load_dword s6, s[4:5], 0x1c
	s_addc_u32 flat_scratch_hi, s7, 0
	s_add_u32 s0, s0, s9
	s_addc_u32 s1, s1, 0
	s_add_u32 s8, s4, 16
	s_addc_u32 s9, s5, 0
	s_waitcnt lgkmcnt(0)
	s_lshr_b32 s28, s6, 16
	s_and_b32 s29, s6, 0xffff
	v_mad_u32_u24 v1, v2, s28, v1
	v_mad_u64_u32 v[29:30], s[6:7], v1, s29, v[0:1]
	v_cmp_eq_u32_e32 vcc, 0, v29
	s_and_saveexec_b64 s[10:11], vcc
	s_cbranch_execz .LBB4_189
; %bb.1:
	s_load_dword s30, s[8:9], 0x10
	s_load_dwordx2 s[12:13], s[8:9], 0x50
	v_mbcnt_lo_u32_b32 v0, -1, 0
	v_mbcnt_hi_u32_b32 v31, -1, v0
	v_readfirstlane_b32 s6, v31
	v_mov_b32_e32 v5, 0
	v_mov_b32_e32 v6, 0
	v_cmp_eq_u32_e64 s[6:7], s6, v31
	s_and_saveexec_b64 s[14:15], s[6:7]
	s_cbranch_execz .LBB4_7
; %bb.2:
	v_mov_b32_e32 v0, 0
	s_waitcnt lgkmcnt(0)
	global_load_dwordx2 v[3:4], v0, s[12:13] offset:24 glc
	s_waitcnt vmcnt(0)
	buffer_wbinvl1_vol
	global_load_dwordx2 v[1:2], v0, s[12:13] offset:40
	global_load_dwordx2 v[5:6], v0, s[12:13]
	s_waitcnt vmcnt(1)
	v_and_b32_e32 v1, v1, v3
	v_and_b32_e32 v2, v2, v4
	v_mul_lo_u32 v2, v2, 24
	v_mul_hi_u32 v7, v1, 24
	v_mul_lo_u32 v1, v1, 24
	v_add_u32_e32 v2, v7, v2
	s_waitcnt vmcnt(0)
	v_add_co_u32_e32 v1, vcc, v5, v1
	v_addc_co_u32_e32 v2, vcc, v6, v2, vcc
	global_load_dwordx2 v[1:2], v[1:2], off glc
	s_waitcnt vmcnt(0)
	global_atomic_cmpswap_x2 v[5:6], v0, v[1:4], s[12:13] offset:24 glc
	s_waitcnt vmcnt(0)
	buffer_wbinvl1_vol
	v_cmp_ne_u64_e32 vcc, v[5:6], v[3:4]
	s_and_saveexec_b64 s[16:17], vcc
	s_cbranch_execz .LBB4_6
; %bb.3:
	s_mov_b64 s[18:19], 0
.LBB4_4:                                ; =>This Inner Loop Header: Depth=1
	s_sleep 1
	global_load_dwordx2 v[1:2], v0, s[12:13] offset:40
	global_load_dwordx2 v[7:8], v0, s[12:13]
	v_mov_b32_e32 v3, v5
	v_mov_b32_e32 v4, v6
	s_waitcnt vmcnt(1)
	v_and_b32_e32 v1, v1, v3
	s_waitcnt vmcnt(0)
	v_mad_u64_u32 v[5:6], s[20:21], v1, 24, v[7:8]
	v_and_b32_e32 v2, v2, v4
	v_mov_b32_e32 v1, v6
	v_mad_u64_u32 v[1:2], s[20:21], v2, 24, v[1:2]
	v_mov_b32_e32 v6, v1
	global_load_dwordx2 v[1:2], v[5:6], off glc
	s_waitcnt vmcnt(0)
	global_atomic_cmpswap_x2 v[5:6], v0, v[1:4], s[12:13] offset:24 glc
	s_waitcnt vmcnt(0)
	buffer_wbinvl1_vol
	v_cmp_eq_u64_e32 vcc, v[5:6], v[3:4]
	s_or_b64 s[18:19], vcc, s[18:19]
	s_andn2_b64 exec, exec, s[18:19]
	s_cbranch_execnz .LBB4_4
; %bb.5:
	s_or_b64 exec, exec, s[18:19]
.LBB4_6:
	s_or_b64 exec, exec, s[16:17]
.LBB4_7:
	s_or_b64 exec, exec, s[14:15]
	v_mov_b32_e32 v4, 0
	s_waitcnt lgkmcnt(0)
	global_load_dwordx2 v[7:8], v4, s[12:13] offset:40
	global_load_dwordx4 v[0:3], v4, s[12:13]
	v_readfirstlane_b32 s15, v6
	v_readfirstlane_b32 s14, v5
	s_mov_b64 s[16:17], exec
	s_waitcnt vmcnt(1)
	v_readfirstlane_b32 s18, v7
	v_readfirstlane_b32 s19, v8
	s_and_b64 s[18:19], s[18:19], s[14:15]
	s_mul_i32 s20, s19, 24
	s_mul_hi_u32 s21, s18, 24
	s_mul_i32 s22, s18, 24
	s_add_i32 s20, s21, s20
	v_mov_b32_e32 v5, s20
	s_waitcnt vmcnt(0)
	v_add_co_u32_e32 v7, vcc, s22, v0
	v_addc_co_u32_e32 v8, vcc, v1, v5, vcc
	s_and_saveexec_b64 s[20:21], s[6:7]
	s_cbranch_execz .LBB4_9
; %bb.8:
	v_mov_b32_e32 v9, s16
	v_mov_b32_e32 v10, s17
	;; [unrolled: 1-line block ×4, first 2 shown]
	global_store_dwordx4 v[7:8], v[9:12], off offset:8
.LBB4_9:
	s_or_b64 exec, exec, s[20:21]
	s_lshl_b64 s[16:17], s[18:19], 12
	v_mov_b32_e32 v5, s17
	v_add_co_u32_e32 v2, vcc, s16, v2
	v_addc_co_u32_e32 v11, vcc, v3, v5, vcc
	v_lshlrev_b32_e32 v30, 6, v31
	s_mov_b32 s16, 0
	v_mov_b32_e32 v3, 33
	v_mov_b32_e32 v5, v4
	;; [unrolled: 1-line block ×3, first 2 shown]
	v_readfirstlane_b32 s20, v2
	v_readfirstlane_b32 s21, v11
	v_add_co_u32_e32 v9, vcc, v2, v30
	s_mov_b32 s17, s16
	s_mov_b32 s18, s16
	;; [unrolled: 1-line block ×3, first 2 shown]
	s_nop 0
	global_store_dwordx4 v30, v[3:6], s[20:21]
	v_mov_b32_e32 v2, s16
	v_addc_co_u32_e32 v10, vcc, 0, v11, vcc
	v_mov_b32_e32 v3, s17
	v_mov_b32_e32 v4, s18
	;; [unrolled: 1-line block ×3, first 2 shown]
	global_store_dwordx4 v30, v[2:5], s[20:21] offset:16
	global_store_dwordx4 v30, v[2:5], s[20:21] offset:32
	;; [unrolled: 1-line block ×3, first 2 shown]
	s_and_saveexec_b64 s[16:17], s[6:7]
	s_cbranch_execz .LBB4_17
; %bb.10:
	v_mov_b32_e32 v6, 0
	global_load_dwordx2 v[13:14], v6, s[12:13] offset:32 glc
	global_load_dwordx2 v[2:3], v6, s[12:13] offset:40
	v_mov_b32_e32 v11, s14
	v_mov_b32_e32 v12, s15
	s_waitcnt vmcnt(0)
	v_and_b32_e32 v2, s14, v2
	v_and_b32_e32 v3, s15, v3
	v_mul_lo_u32 v3, v3, 24
	v_mul_hi_u32 v4, v2, 24
	v_mul_lo_u32 v2, v2, 24
	v_add_u32_e32 v3, v4, v3
	v_add_co_u32_e32 v4, vcc, v0, v2
	v_addc_co_u32_e32 v5, vcc, v1, v3, vcc
	global_store_dwordx2 v[4:5], v[13:14], off
	s_waitcnt vmcnt(0)
	global_atomic_cmpswap_x2 v[2:3], v6, v[11:14], s[12:13] offset:32 glc
	s_waitcnt vmcnt(0)
	v_cmp_ne_u64_e32 vcc, v[2:3], v[13:14]
	s_and_saveexec_b64 s[18:19], vcc
	s_cbranch_execz .LBB4_13
; %bb.11:
	s_mov_b64 s[20:21], 0
.LBB4_12:                               ; =>This Inner Loop Header: Depth=1
	s_sleep 1
	global_store_dwordx2 v[4:5], v[2:3], off
	v_mov_b32_e32 v0, s14
	v_mov_b32_e32 v1, s15
	s_waitcnt vmcnt(0)
	global_atomic_cmpswap_x2 v[0:1], v6, v[0:3], s[12:13] offset:32 glc
	s_waitcnt vmcnt(0)
	v_cmp_eq_u64_e32 vcc, v[0:1], v[2:3]
	v_mov_b32_e32 v3, v1
	s_or_b64 s[20:21], vcc, s[20:21]
	v_mov_b32_e32 v2, v0
	s_andn2_b64 exec, exec, s[20:21]
	s_cbranch_execnz .LBB4_12
.LBB4_13:
	s_or_b64 exec, exec, s[18:19]
	v_mov_b32_e32 v3, 0
	global_load_dwordx2 v[0:1], v3, s[12:13] offset:16
	s_mov_b64 s[18:19], exec
	v_mbcnt_lo_u32_b32 v2, s18, 0
	v_mbcnt_hi_u32_b32 v2, s19, v2
	v_cmp_eq_u32_e32 vcc, 0, v2
	s_and_saveexec_b64 s[20:21], vcc
	s_cbranch_execz .LBB4_15
; %bb.14:
	s_bcnt1_i32_b64 s18, s[18:19]
	v_mov_b32_e32 v2, s18
	s_waitcnt vmcnt(0)
	global_atomic_add_x2 v[0:1], v[2:3], off offset:8
.LBB4_15:
	s_or_b64 exec, exec, s[20:21]
	s_waitcnt vmcnt(0)
	global_load_dwordx2 v[2:3], v[0:1], off offset:16
	s_waitcnt vmcnt(0)
	v_cmp_eq_u64_e32 vcc, 0, v[2:3]
	s_cbranch_vccnz .LBB4_17
; %bb.16:
	global_load_dword v0, v[0:1], off offset:24
	v_mov_b32_e32 v1, 0
	s_waitcnt vmcnt(0)
	v_readfirstlane_b32 s18, v0
	s_and_b32 m0, s18, 0xffffff
	global_store_dwordx2 v[2:3], v[0:1], off
	s_sendmsg sendmsg(MSG_INTERRUPT)
.LBB4_17:
	s_or_b64 exec, exec, s[16:17]
	s_branch .LBB4_21
.LBB4_18:                               ;   in Loop: Header=BB4_21 Depth=1
	s_or_b64 exec, exec, s[16:17]
	v_readfirstlane_b32 s16, v0
	s_cmp_eq_u32 s16, 0
	s_cbranch_scc1 .LBB4_20
; %bb.19:                               ;   in Loop: Header=BB4_21 Depth=1
	s_sleep 1
	s_cbranch_execnz .LBB4_21
	s_branch .LBB4_23
.LBB4_20:
	s_branch .LBB4_23
.LBB4_21:                               ; =>This Inner Loop Header: Depth=1
	v_mov_b32_e32 v0, 1
	s_and_saveexec_b64 s[16:17], s[6:7]
	s_cbranch_execz .LBB4_18
; %bb.22:                               ;   in Loop: Header=BB4_21 Depth=1
	global_load_dword v0, v[7:8], off offset:20 glc
	s_waitcnt vmcnt(0)
	buffer_wbinvl1_vol
	v_and_b32_e32 v0, 1, v0
	s_branch .LBB4_18
.LBB4_23:
	global_load_dwordx2 v[0:1], v[9:10], off
	s_and_saveexec_b64 s[16:17], s[6:7]
	s_cbranch_execz .LBB4_26
; %bb.24:
	v_mov_b32_e32 v8, 0
	global_load_dwordx2 v[2:3], v8, s[12:13] offset:40
	global_load_dwordx2 v[11:12], v8, s[12:13] offset:24 glc
	global_load_dwordx2 v[4:5], v8, s[12:13]
	s_waitcnt vmcnt(2)
	v_readfirstlane_b32 s18, v2
	v_readfirstlane_b32 s19, v3
	s_add_u32 s20, s18, 1
	s_addc_u32 s21, s19, 0
	s_add_u32 s6, s20, s14
	s_addc_u32 s7, s21, s15
	s_cmp_eq_u64 s[6:7], 0
	s_cselect_b32 s7, s21, s7
	s_cselect_b32 s6, s20, s6
	s_and_b64 s[14:15], s[6:7], s[18:19]
	s_mul_i32 s15, s15, 24
	s_mul_hi_u32 s18, s14, 24
	s_mul_i32 s14, s14, 24
	s_add_i32 s15, s18, s15
	v_mov_b32_e32 v2, s15
	s_waitcnt vmcnt(0)
	v_add_co_u32_e32 v6, vcc, s14, v4
	v_addc_co_u32_e32 v7, vcc, v5, v2, vcc
	v_mov_b32_e32 v9, s6
	global_store_dwordx2 v[6:7], v[11:12], off
	v_mov_b32_e32 v10, s7
	s_waitcnt vmcnt(0)
	global_atomic_cmpswap_x2 v[4:5], v8, v[9:12], s[12:13] offset:24 glc
	s_mov_b64 s[14:15], 0
	s_waitcnt vmcnt(0)
	v_cmp_ne_u64_e32 vcc, v[4:5], v[11:12]
	s_and_b64 exec, exec, vcc
	s_cbranch_execz .LBB4_26
.LBB4_25:                               ; =>This Inner Loop Header: Depth=1
	s_sleep 1
	global_store_dwordx2 v[6:7], v[4:5], off
	v_mov_b32_e32 v2, s6
	v_mov_b32_e32 v3, s7
	s_waitcnt vmcnt(0)
	global_atomic_cmpswap_x2 v[2:3], v8, v[2:5], s[12:13] offset:24 glc
	s_waitcnt vmcnt(0)
	v_cmp_eq_u64_e32 vcc, v[2:3], v[4:5]
	v_mov_b32_e32 v5, v3
	s_or_b64 s[14:15], vcc, s[14:15]
	v_mov_b32_e32 v4, v2
	s_andn2_b64 exec, exec, s[14:15]
	s_cbranch_execnz .LBB4_25
.LBB4_26:
	s_or_b64 exec, exec, s[16:17]
	s_getpc_b64 s[14:15]
	s_add_u32 s14, s14, .str@rel32@lo+4
	s_addc_u32 s15, s15, .str@rel32@hi+12
	s_cmp_lg_u64 s[14:15], 0
	s_cbranch_scc0 .LBB4_112
; %bb.27:
	s_waitcnt vmcnt(0)
	v_and_b32_e32 v32, 2, v0
	v_mov_b32_e32 v26, 0
	v_and_b32_e32 v2, -3, v0
	v_mov_b32_e32 v3, v1
	s_mov_b64 s[16:17], 48
	v_mov_b32_e32 v8, 2
	v_mov_b32_e32 v9, 1
	s_branch .LBB4_29
.LBB4_28:                               ;   in Loop: Header=BB4_29 Depth=1
	s_or_b64 exec, exec, s[22:23]
	s_sub_u32 s16, s16, s18
	s_subb_u32 s17, s17, s19
	s_add_u32 s14, s14, s18
	s_addc_u32 s15, s15, s19
	s_cmp_lg_u64 s[16:17], 0
	s_cbranch_scc0 .LBB4_111
.LBB4_29:                               ; =>This Loop Header: Depth=1
                                        ;     Child Loop BB4_32 Depth 2
                                        ;     Child Loop BB4_40 Depth 2
	;; [unrolled: 1-line block ×11, first 2 shown]
	v_cmp_lt_u64_e64 s[6:7], s[16:17], 56
	v_cmp_gt_u64_e64 s[20:21], s[16:17], 7
	s_and_b64 s[6:7], s[6:7], exec
	s_cselect_b32 s19, s17, 0
	s_cselect_b32 s18, s16, 56
	s_add_u32 s6, s14, 8
	s_addc_u32 s7, s15, 0
	s_and_b64 vcc, exec, s[20:21]
	s_cbranch_vccnz .LBB4_33
; %bb.30:                               ;   in Loop: Header=BB4_29 Depth=1
	s_cmp_eq_u64 s[16:17], 0
	s_cbranch_scc1 .LBB4_34
; %bb.31:                               ;   in Loop: Header=BB4_29 Depth=1
	v_mov_b32_e32 v4, 0
	s_lshl_b64 s[6:7], s[18:19], 3
	s_mov_b64 s[20:21], 0
	v_mov_b32_e32 v5, 0
	s_mov_b64 s[22:23], s[14:15]
.LBB4_32:                               ;   Parent Loop BB4_29 Depth=1
                                        ; =>  This Inner Loop Header: Depth=2
	global_load_ubyte v6, v26, s[22:23]
	s_waitcnt vmcnt(0)
	v_and_b32_e32 v25, 0xffff, v6
	v_lshlrev_b64 v[6:7], s20, v[25:26]
	s_add_u32 s20, s20, 8
	s_addc_u32 s21, s21, 0
	s_add_u32 s22, s22, 1
	s_addc_u32 s23, s23, 0
	v_or_b32_e32 v4, v6, v4
	s_cmp_lg_u32 s6, s20
	v_or_b32_e32 v5, v7, v5
	s_cbranch_scc1 .LBB4_32
	s_branch .LBB4_35
.LBB4_33:                               ;   in Loop: Header=BB4_29 Depth=1
	s_mov_b32 s24, 0
	s_branch .LBB4_36
.LBB4_34:                               ;   in Loop: Header=BB4_29 Depth=1
	v_mov_b32_e32 v4, 0
	v_mov_b32_e32 v5, 0
.LBB4_35:                               ;   in Loop: Header=BB4_29 Depth=1
	s_mov_b64 s[6:7], s[14:15]
	s_mov_b32 s24, 0
	s_cbranch_execnz .LBB4_37
.LBB4_36:                               ;   in Loop: Header=BB4_29 Depth=1
	global_load_dwordx2 v[4:5], v26, s[14:15]
	s_add_i32 s24, s18, -8
.LBB4_37:                               ;   in Loop: Header=BB4_29 Depth=1
	s_add_u32 s20, s6, 8
	s_addc_u32 s21, s7, 0
	s_cmp_gt_u32 s24, 7
	s_cbranch_scc1 .LBB4_41
; %bb.38:                               ;   in Loop: Header=BB4_29 Depth=1
	s_cmp_eq_u32 s24, 0
	s_cbranch_scc1 .LBB4_42
; %bb.39:                               ;   in Loop: Header=BB4_29 Depth=1
	v_mov_b32_e32 v10, 0
	s_mov_b64 s[20:21], 0
	v_mov_b32_e32 v11, 0
	s_mov_b64 s[22:23], 0
.LBB4_40:                               ;   Parent Loop BB4_29 Depth=1
                                        ; =>  This Inner Loop Header: Depth=2
	s_add_u32 s26, s6, s22
	s_addc_u32 s27, s7, s23
	global_load_ubyte v6, v26, s[26:27]
	s_add_u32 s22, s22, 1
	s_addc_u32 s23, s23, 0
	s_waitcnt vmcnt(0)
	v_and_b32_e32 v25, 0xffff, v6
	v_lshlrev_b64 v[6:7], s20, v[25:26]
	s_add_u32 s20, s20, 8
	s_addc_u32 s21, s21, 0
	v_or_b32_e32 v10, v6, v10
	s_cmp_lg_u32 s24, s22
	v_or_b32_e32 v11, v7, v11
	s_cbranch_scc1 .LBB4_40
	s_branch .LBB4_43
.LBB4_41:                               ;   in Loop: Header=BB4_29 Depth=1
                                        ; implicit-def: $vgpr10_vgpr11
	s_mov_b32 s25, 0
	s_branch .LBB4_44
.LBB4_42:                               ;   in Loop: Header=BB4_29 Depth=1
	v_mov_b32_e32 v10, 0
	v_mov_b32_e32 v11, 0
.LBB4_43:                               ;   in Loop: Header=BB4_29 Depth=1
	s_mov_b64 s[20:21], s[6:7]
	s_mov_b32 s25, 0
	s_cbranch_execnz .LBB4_45
.LBB4_44:                               ;   in Loop: Header=BB4_29 Depth=1
	global_load_dwordx2 v[10:11], v26, s[6:7]
	s_add_i32 s25, s24, -8
.LBB4_45:                               ;   in Loop: Header=BB4_29 Depth=1
	s_add_u32 s6, s20, 8
	s_addc_u32 s7, s21, 0
	s_cmp_gt_u32 s25, 7
	s_cbranch_scc1 .LBB4_49
; %bb.46:                               ;   in Loop: Header=BB4_29 Depth=1
	s_cmp_eq_u32 s25, 0
	s_cbranch_scc1 .LBB4_50
; %bb.47:                               ;   in Loop: Header=BB4_29 Depth=1
	v_mov_b32_e32 v12, 0
	s_mov_b64 s[6:7], 0
	v_mov_b32_e32 v13, 0
	s_mov_b64 s[22:23], 0
.LBB4_48:                               ;   Parent Loop BB4_29 Depth=1
                                        ; =>  This Inner Loop Header: Depth=2
	s_add_u32 s26, s20, s22
	s_addc_u32 s27, s21, s23
	global_load_ubyte v6, v26, s[26:27]
	s_add_u32 s22, s22, 1
	s_addc_u32 s23, s23, 0
	s_waitcnt vmcnt(0)
	v_and_b32_e32 v25, 0xffff, v6
	v_lshlrev_b64 v[6:7], s6, v[25:26]
	s_add_u32 s6, s6, 8
	s_addc_u32 s7, s7, 0
	v_or_b32_e32 v12, v6, v12
	s_cmp_lg_u32 s25, s22
	v_or_b32_e32 v13, v7, v13
	s_cbranch_scc1 .LBB4_48
	s_branch .LBB4_51
.LBB4_49:                               ;   in Loop: Header=BB4_29 Depth=1
	s_mov_b32 s24, 0
	s_branch .LBB4_52
.LBB4_50:                               ;   in Loop: Header=BB4_29 Depth=1
	v_mov_b32_e32 v12, 0
	v_mov_b32_e32 v13, 0
.LBB4_51:                               ;   in Loop: Header=BB4_29 Depth=1
	s_mov_b64 s[6:7], s[20:21]
	s_mov_b32 s24, 0
	s_cbranch_execnz .LBB4_53
.LBB4_52:                               ;   in Loop: Header=BB4_29 Depth=1
	global_load_dwordx2 v[12:13], v26, s[20:21]
	s_add_i32 s24, s25, -8
.LBB4_53:                               ;   in Loop: Header=BB4_29 Depth=1
	s_add_u32 s20, s6, 8
	s_addc_u32 s21, s7, 0
	s_cmp_gt_u32 s24, 7
	s_cbranch_scc1 .LBB4_57
; %bb.54:                               ;   in Loop: Header=BB4_29 Depth=1
	s_cmp_eq_u32 s24, 0
	s_cbranch_scc1 .LBB4_58
; %bb.55:                               ;   in Loop: Header=BB4_29 Depth=1
	v_mov_b32_e32 v14, 0
	s_mov_b64 s[20:21], 0
	v_mov_b32_e32 v15, 0
	s_mov_b64 s[22:23], 0
.LBB4_56:                               ;   Parent Loop BB4_29 Depth=1
                                        ; =>  This Inner Loop Header: Depth=2
	s_add_u32 s26, s6, s22
	s_addc_u32 s27, s7, s23
	global_load_ubyte v6, v26, s[26:27]
	s_add_u32 s22, s22, 1
	s_addc_u32 s23, s23, 0
	s_waitcnt vmcnt(0)
	v_and_b32_e32 v25, 0xffff, v6
	v_lshlrev_b64 v[6:7], s20, v[25:26]
	s_add_u32 s20, s20, 8
	s_addc_u32 s21, s21, 0
	v_or_b32_e32 v14, v6, v14
	s_cmp_lg_u32 s24, s22
	v_or_b32_e32 v15, v7, v15
	s_cbranch_scc1 .LBB4_56
	s_branch .LBB4_59
.LBB4_57:                               ;   in Loop: Header=BB4_29 Depth=1
                                        ; implicit-def: $vgpr14_vgpr15
	s_mov_b32 s25, 0
	s_branch .LBB4_60
.LBB4_58:                               ;   in Loop: Header=BB4_29 Depth=1
	v_mov_b32_e32 v14, 0
	v_mov_b32_e32 v15, 0
.LBB4_59:                               ;   in Loop: Header=BB4_29 Depth=1
	s_mov_b64 s[20:21], s[6:7]
	s_mov_b32 s25, 0
	s_cbranch_execnz .LBB4_61
.LBB4_60:                               ;   in Loop: Header=BB4_29 Depth=1
	global_load_dwordx2 v[14:15], v26, s[6:7]
	s_add_i32 s25, s24, -8
.LBB4_61:                               ;   in Loop: Header=BB4_29 Depth=1
	s_add_u32 s6, s20, 8
	s_addc_u32 s7, s21, 0
	s_cmp_gt_u32 s25, 7
	s_cbranch_scc1 .LBB4_65
; %bb.62:                               ;   in Loop: Header=BB4_29 Depth=1
	s_cmp_eq_u32 s25, 0
	s_cbranch_scc1 .LBB4_66
; %bb.63:                               ;   in Loop: Header=BB4_29 Depth=1
	v_mov_b32_e32 v16, 0
	s_mov_b64 s[6:7], 0
	v_mov_b32_e32 v17, 0
	s_mov_b64 s[22:23], 0
.LBB4_64:                               ;   Parent Loop BB4_29 Depth=1
                                        ; =>  This Inner Loop Header: Depth=2
	s_add_u32 s26, s20, s22
	s_addc_u32 s27, s21, s23
	global_load_ubyte v6, v26, s[26:27]
	s_add_u32 s22, s22, 1
	s_addc_u32 s23, s23, 0
	s_waitcnt vmcnt(0)
	v_and_b32_e32 v25, 0xffff, v6
	v_lshlrev_b64 v[6:7], s6, v[25:26]
	s_add_u32 s6, s6, 8
	s_addc_u32 s7, s7, 0
	v_or_b32_e32 v16, v6, v16
	s_cmp_lg_u32 s25, s22
	v_or_b32_e32 v17, v7, v17
	s_cbranch_scc1 .LBB4_64
	s_branch .LBB4_67
.LBB4_65:                               ;   in Loop: Header=BB4_29 Depth=1
	s_mov_b32 s24, 0
	s_branch .LBB4_68
.LBB4_66:                               ;   in Loop: Header=BB4_29 Depth=1
	v_mov_b32_e32 v16, 0
	v_mov_b32_e32 v17, 0
.LBB4_67:                               ;   in Loop: Header=BB4_29 Depth=1
	s_mov_b64 s[6:7], s[20:21]
	s_mov_b32 s24, 0
	s_cbranch_execnz .LBB4_69
.LBB4_68:                               ;   in Loop: Header=BB4_29 Depth=1
	global_load_dwordx2 v[16:17], v26, s[20:21]
	s_add_i32 s24, s25, -8
.LBB4_69:                               ;   in Loop: Header=BB4_29 Depth=1
	s_add_u32 s20, s6, 8
	s_addc_u32 s21, s7, 0
	s_cmp_gt_u32 s24, 7
	s_cbranch_scc1 .LBB4_73
; %bb.70:                               ;   in Loop: Header=BB4_29 Depth=1
	s_cmp_eq_u32 s24, 0
	s_cbranch_scc1 .LBB4_74
; %bb.71:                               ;   in Loop: Header=BB4_29 Depth=1
	v_mov_b32_e32 v18, 0
	s_mov_b64 s[20:21], 0
	v_mov_b32_e32 v19, 0
	s_mov_b64 s[22:23], 0
.LBB4_72:                               ;   Parent Loop BB4_29 Depth=1
                                        ; =>  This Inner Loop Header: Depth=2
	s_add_u32 s26, s6, s22
	s_addc_u32 s27, s7, s23
	global_load_ubyte v6, v26, s[26:27]
	s_add_u32 s22, s22, 1
	s_addc_u32 s23, s23, 0
	s_waitcnt vmcnt(0)
	v_and_b32_e32 v25, 0xffff, v6
	v_lshlrev_b64 v[6:7], s20, v[25:26]
	s_add_u32 s20, s20, 8
	s_addc_u32 s21, s21, 0
	v_or_b32_e32 v18, v6, v18
	s_cmp_lg_u32 s24, s22
	v_or_b32_e32 v19, v7, v19
	s_cbranch_scc1 .LBB4_72
	s_branch .LBB4_75
.LBB4_73:                               ;   in Loop: Header=BB4_29 Depth=1
                                        ; implicit-def: $vgpr18_vgpr19
	s_mov_b32 s25, 0
	s_branch .LBB4_76
.LBB4_74:                               ;   in Loop: Header=BB4_29 Depth=1
	v_mov_b32_e32 v18, 0
	v_mov_b32_e32 v19, 0
.LBB4_75:                               ;   in Loop: Header=BB4_29 Depth=1
	s_mov_b64 s[20:21], s[6:7]
	s_mov_b32 s25, 0
	s_cbranch_execnz .LBB4_77
.LBB4_76:                               ;   in Loop: Header=BB4_29 Depth=1
	global_load_dwordx2 v[18:19], v26, s[6:7]
	s_add_i32 s25, s24, -8
.LBB4_77:                               ;   in Loop: Header=BB4_29 Depth=1
	s_cmp_gt_u32 s25, 7
	s_cbranch_scc1 .LBB4_81
; %bb.78:                               ;   in Loop: Header=BB4_29 Depth=1
	s_cmp_eq_u32 s25, 0
	s_cbranch_scc1 .LBB4_82
; %bb.79:                               ;   in Loop: Header=BB4_29 Depth=1
	v_mov_b32_e32 v20, 0
	s_mov_b64 s[6:7], 0
	v_mov_b32_e32 v21, 0
	s_mov_b64 s[22:23], s[20:21]
.LBB4_80:                               ;   Parent Loop BB4_29 Depth=1
                                        ; =>  This Inner Loop Header: Depth=2
	global_load_ubyte v6, v26, s[22:23]
	s_add_i32 s25, s25, -1
	s_waitcnt vmcnt(0)
	v_and_b32_e32 v25, 0xffff, v6
	v_lshlrev_b64 v[6:7], s6, v[25:26]
	s_add_u32 s6, s6, 8
	s_addc_u32 s7, s7, 0
	s_add_u32 s22, s22, 1
	s_addc_u32 s23, s23, 0
	v_or_b32_e32 v20, v6, v20
	s_cmp_lg_u32 s25, 0
	v_or_b32_e32 v21, v7, v21
	s_cbranch_scc1 .LBB4_80
	s_branch .LBB4_83
.LBB4_81:                               ;   in Loop: Header=BB4_29 Depth=1
	s_branch .LBB4_84
.LBB4_82:                               ;   in Loop: Header=BB4_29 Depth=1
	v_mov_b32_e32 v20, 0
	v_mov_b32_e32 v21, 0
.LBB4_83:                               ;   in Loop: Header=BB4_29 Depth=1
	s_cbranch_execnz .LBB4_85
.LBB4_84:                               ;   in Loop: Header=BB4_29 Depth=1
	global_load_dwordx2 v[20:21], v26, s[20:21]
.LBB4_85:                               ;   in Loop: Header=BB4_29 Depth=1
	v_readfirstlane_b32 s6, v31
	v_mov_b32_e32 v6, 0
	v_mov_b32_e32 v7, 0
	v_cmp_eq_u32_e64 s[6:7], s6, v31
	s_and_saveexec_b64 s[20:21], s[6:7]
	s_cbranch_execz .LBB4_91
; %bb.86:                               ;   in Loop: Header=BB4_29 Depth=1
	global_load_dwordx2 v[24:25], v26, s[12:13] offset:24 glc
	s_waitcnt vmcnt(0)
	buffer_wbinvl1_vol
	global_load_dwordx2 v[6:7], v26, s[12:13] offset:40
	global_load_dwordx2 v[22:23], v26, s[12:13]
	s_waitcnt vmcnt(1)
	v_and_b32_e32 v6, v6, v24
	v_and_b32_e32 v7, v7, v25
	v_mul_lo_u32 v7, v7, 24
	v_mul_hi_u32 v27, v6, 24
	v_mul_lo_u32 v6, v6, 24
	v_add_u32_e32 v7, v27, v7
	s_waitcnt vmcnt(0)
	v_add_co_u32_e32 v6, vcc, v22, v6
	v_addc_co_u32_e32 v7, vcc, v23, v7, vcc
	global_load_dwordx2 v[22:23], v[6:7], off glc
	s_waitcnt vmcnt(0)
	global_atomic_cmpswap_x2 v[6:7], v26, v[22:25], s[12:13] offset:24 glc
	s_waitcnt vmcnt(0)
	buffer_wbinvl1_vol
	v_cmp_ne_u64_e32 vcc, v[6:7], v[24:25]
	s_and_saveexec_b64 s[22:23], vcc
	s_cbranch_execz .LBB4_90
; %bb.87:                               ;   in Loop: Header=BB4_29 Depth=1
	s_mov_b64 s[24:25], 0
.LBB4_88:                               ;   Parent Loop BB4_29 Depth=1
                                        ; =>  This Inner Loop Header: Depth=2
	s_sleep 1
	global_load_dwordx2 v[22:23], v26, s[12:13] offset:40
	global_load_dwordx2 v[27:28], v26, s[12:13]
	v_mov_b32_e32 v25, v7
	v_mov_b32_e32 v24, v6
	s_waitcnt vmcnt(1)
	v_and_b32_e32 v6, v22, v24
	s_waitcnt vmcnt(0)
	v_mad_u64_u32 v[6:7], s[26:27], v6, 24, v[27:28]
	v_and_b32_e32 v22, v23, v25
	v_mad_u64_u32 v[22:23], s[26:27], v22, 24, v[7:8]
	v_mov_b32_e32 v7, v22
	global_load_dwordx2 v[22:23], v[6:7], off glc
	s_waitcnt vmcnt(0)
	global_atomic_cmpswap_x2 v[6:7], v26, v[22:25], s[12:13] offset:24 glc
	s_waitcnt vmcnt(0)
	buffer_wbinvl1_vol
	v_cmp_eq_u64_e32 vcc, v[6:7], v[24:25]
	s_or_b64 s[24:25], vcc, s[24:25]
	s_andn2_b64 exec, exec, s[24:25]
	s_cbranch_execnz .LBB4_88
; %bb.89:                               ;   in Loop: Header=BB4_29 Depth=1
	s_or_b64 exec, exec, s[24:25]
.LBB4_90:                               ;   in Loop: Header=BB4_29 Depth=1
	s_or_b64 exec, exec, s[22:23]
.LBB4_91:                               ;   in Loop: Header=BB4_29 Depth=1
	s_or_b64 exec, exec, s[20:21]
	global_load_dwordx2 v[27:28], v26, s[12:13] offset:40
	global_load_dwordx4 v[22:25], v26, s[12:13]
	v_readfirstlane_b32 s21, v7
	v_readfirstlane_b32 s20, v6
	s_mov_b64 s[22:23], exec
	s_waitcnt vmcnt(1)
	v_readfirstlane_b32 s24, v27
	v_readfirstlane_b32 s25, v28
	s_and_b64 s[24:25], s[24:25], s[20:21]
	s_mul_i32 s26, s25, 24
	s_mul_hi_u32 s27, s24, 24
	s_mul_i32 s31, s24, 24
	s_add_i32 s26, s27, s26
	v_mov_b32_e32 v6, s26
	s_waitcnt vmcnt(0)
	v_add_co_u32_e32 v27, vcc, s31, v22
	v_addc_co_u32_e32 v28, vcc, v23, v6, vcc
	s_and_saveexec_b64 s[26:27], s[6:7]
	s_cbranch_execz .LBB4_93
; %bb.92:                               ;   in Loop: Header=BB4_29 Depth=1
	v_mov_b32_e32 v6, s22
	v_mov_b32_e32 v7, s23
	global_store_dwordx4 v[27:28], v[6:9], off offset:8
.LBB4_93:                               ;   in Loop: Header=BB4_29 Depth=1
	s_or_b64 exec, exec, s[26:27]
	s_lshl_b64 s[22:23], s[24:25], 12
	v_mov_b32_e32 v6, s23
	v_add_co_u32_e32 v24, vcc, s22, v24
	v_addc_co_u32_e32 v33, vcc, v25, v6, vcc
	v_cmp_lt_u64_e64 vcc, s[16:17], 57
	s_lshl_b32 s22, s18, 2
	v_cndmask_b32_e32 v6, 0, v32, vcc
	s_add_i32 s22, s22, 28
	v_and_b32_e32 v2, 0xffffff1f, v2
	s_and_b32 s22, s22, 0x1e0
	v_or_b32_e32 v2, v2, v6
	v_or_b32_e32 v2, s22, v2
	v_readfirstlane_b32 s22, v24
	v_readfirstlane_b32 s23, v33
	s_nop 4
	global_store_dwordx4 v30, v[2:5], s[22:23]
	global_store_dwordx4 v30, v[10:13], s[22:23] offset:16
	global_store_dwordx4 v30, v[14:17], s[22:23] offset:32
	;; [unrolled: 1-line block ×3, first 2 shown]
	s_and_saveexec_b64 s[22:23], s[6:7]
	s_cbranch_execz .LBB4_101
; %bb.94:                               ;   in Loop: Header=BB4_29 Depth=1
	global_load_dwordx2 v[12:13], v26, s[12:13] offset:32 glc
	global_load_dwordx2 v[2:3], v26, s[12:13] offset:40
	v_mov_b32_e32 v10, s20
	v_mov_b32_e32 v11, s21
	s_waitcnt vmcnt(0)
	v_readfirstlane_b32 s24, v2
	v_readfirstlane_b32 s25, v3
	s_and_b64 s[24:25], s[24:25], s[20:21]
	s_mul_i32 s25, s25, 24
	s_mul_hi_u32 s26, s24, 24
	s_mul_i32 s24, s24, 24
	s_add_i32 s25, s26, s25
	v_mov_b32_e32 v2, s25
	v_add_co_u32_e32 v6, vcc, s24, v22
	v_addc_co_u32_e32 v7, vcc, v23, v2, vcc
	global_store_dwordx2 v[6:7], v[12:13], off
	s_waitcnt vmcnt(0)
	global_atomic_cmpswap_x2 v[4:5], v26, v[10:13], s[12:13] offset:32 glc
	s_waitcnt vmcnt(0)
	v_cmp_ne_u64_e32 vcc, v[4:5], v[12:13]
	s_and_saveexec_b64 s[24:25], vcc
	s_cbranch_execz .LBB4_97
; %bb.95:                               ;   in Loop: Header=BB4_29 Depth=1
	s_mov_b64 s[26:27], 0
.LBB4_96:                               ;   Parent Loop BB4_29 Depth=1
                                        ; =>  This Inner Loop Header: Depth=2
	s_sleep 1
	global_store_dwordx2 v[6:7], v[4:5], off
	v_mov_b32_e32 v2, s20
	v_mov_b32_e32 v3, s21
	s_waitcnt vmcnt(0)
	global_atomic_cmpswap_x2 v[2:3], v26, v[2:5], s[12:13] offset:32 glc
	s_waitcnt vmcnt(0)
	v_cmp_eq_u64_e32 vcc, v[2:3], v[4:5]
	v_mov_b32_e32 v5, v3
	s_or_b64 s[26:27], vcc, s[26:27]
	v_mov_b32_e32 v4, v2
	s_andn2_b64 exec, exec, s[26:27]
	s_cbranch_execnz .LBB4_96
.LBB4_97:                               ;   in Loop: Header=BB4_29 Depth=1
	s_or_b64 exec, exec, s[24:25]
	global_load_dwordx2 v[2:3], v26, s[12:13] offset:16
	s_mov_b64 s[26:27], exec
	v_mbcnt_lo_u32_b32 v4, s26, 0
	v_mbcnt_hi_u32_b32 v4, s27, v4
	v_cmp_eq_u32_e32 vcc, 0, v4
	s_and_saveexec_b64 s[24:25], vcc
	s_cbranch_execz .LBB4_99
; %bb.98:                               ;   in Loop: Header=BB4_29 Depth=1
	s_bcnt1_i32_b64 s26, s[26:27]
	v_mov_b32_e32 v25, s26
	s_waitcnt vmcnt(0)
	global_atomic_add_x2 v[2:3], v[25:26], off offset:8
.LBB4_99:                               ;   in Loop: Header=BB4_29 Depth=1
	s_or_b64 exec, exec, s[24:25]
	s_waitcnt vmcnt(0)
	global_load_dwordx2 v[4:5], v[2:3], off offset:16
	s_waitcnt vmcnt(0)
	v_cmp_eq_u64_e32 vcc, 0, v[4:5]
	s_cbranch_vccnz .LBB4_101
; %bb.100:                              ;   in Loop: Header=BB4_29 Depth=1
	global_load_dword v25, v[2:3], off offset:24
	s_waitcnt vmcnt(0)
	v_readfirstlane_b32 s24, v25
	s_and_b32 m0, s24, 0xffffff
	global_store_dwordx2 v[4:5], v[25:26], off
	s_sendmsg sendmsg(MSG_INTERRUPT)
.LBB4_101:                              ;   in Loop: Header=BB4_29 Depth=1
	s_or_b64 exec, exec, s[22:23]
	v_add_co_u32_e32 v2, vcc, v24, v30
	v_addc_co_u32_e32 v3, vcc, 0, v33, vcc
	s_branch .LBB4_105
.LBB4_102:                              ;   in Loop: Header=BB4_105 Depth=2
	s_or_b64 exec, exec, s[22:23]
	v_readfirstlane_b32 s22, v4
	s_cmp_eq_u32 s22, 0
	s_cbranch_scc1 .LBB4_104
; %bb.103:                              ;   in Loop: Header=BB4_105 Depth=2
	s_sleep 1
	s_cbranch_execnz .LBB4_105
	s_branch .LBB4_107
.LBB4_104:                              ;   in Loop: Header=BB4_29 Depth=1
	s_branch .LBB4_107
.LBB4_105:                              ;   Parent Loop BB4_29 Depth=1
                                        ; =>  This Inner Loop Header: Depth=2
	v_mov_b32_e32 v4, 1
	s_and_saveexec_b64 s[22:23], s[6:7]
	s_cbranch_execz .LBB4_102
; %bb.106:                              ;   in Loop: Header=BB4_105 Depth=2
	global_load_dword v4, v[27:28], off offset:20 glc
	s_waitcnt vmcnt(0)
	buffer_wbinvl1_vol
	v_and_b32_e32 v4, 1, v4
	s_branch .LBB4_102
.LBB4_107:                              ;   in Loop: Header=BB4_29 Depth=1
	global_load_dwordx2 v[2:3], v[2:3], off
	s_and_saveexec_b64 s[22:23], s[6:7]
	s_cbranch_execz .LBB4_28
; %bb.108:                              ;   in Loop: Header=BB4_29 Depth=1
	global_load_dwordx2 v[4:5], v26, s[12:13] offset:40
	global_load_dwordx2 v[14:15], v26, s[12:13] offset:24 glc
	global_load_dwordx2 v[6:7], v26, s[12:13]
	s_waitcnt vmcnt(2)
	v_readfirstlane_b32 s24, v4
	v_readfirstlane_b32 s25, v5
	s_add_u32 s26, s24, 1
	s_addc_u32 s27, s25, 0
	s_add_u32 s6, s26, s20
	s_addc_u32 s7, s27, s21
	s_cmp_eq_u64 s[6:7], 0
	s_cselect_b32 s7, s27, s7
	s_cselect_b32 s6, s26, s6
	s_and_b64 s[20:21], s[6:7], s[24:25]
	s_mul_i32 s21, s21, 24
	s_mul_hi_u32 s24, s20, 24
	s_mul_i32 s20, s20, 24
	s_add_i32 s21, s24, s21
	v_mov_b32_e32 v4, s21
	s_waitcnt vmcnt(0)
	v_add_co_u32_e32 v10, vcc, s20, v6
	v_addc_co_u32_e32 v11, vcc, v7, v4, vcc
	v_mov_b32_e32 v12, s6
	global_store_dwordx2 v[10:11], v[14:15], off
	v_mov_b32_e32 v13, s7
	s_waitcnt vmcnt(0)
	global_atomic_cmpswap_x2 v[6:7], v26, v[12:15], s[12:13] offset:24 glc
	s_waitcnt vmcnt(0)
	v_cmp_ne_u64_e32 vcc, v[6:7], v[14:15]
	s_and_b64 exec, exec, vcc
	s_cbranch_execz .LBB4_28
; %bb.109:                              ;   in Loop: Header=BB4_29 Depth=1
	s_mov_b64 s[20:21], 0
.LBB4_110:                              ;   Parent Loop BB4_29 Depth=1
                                        ; =>  This Inner Loop Header: Depth=2
	s_sleep 1
	global_store_dwordx2 v[10:11], v[6:7], off
	v_mov_b32_e32 v4, s6
	v_mov_b32_e32 v5, s7
	s_waitcnt vmcnt(0)
	global_atomic_cmpswap_x2 v[4:5], v26, v[4:7], s[12:13] offset:24 glc
	s_waitcnt vmcnt(0)
	v_cmp_eq_u64_e32 vcc, v[4:5], v[6:7]
	v_mov_b32_e32 v7, v5
	s_or_b64 s[20:21], vcc, s[20:21]
	v_mov_b32_e32 v6, v4
	s_andn2_b64 exec, exec, s[20:21]
	s_cbranch_execnz .LBB4_110
	s_branch .LBB4_28
.LBB4_111:
	s_branch .LBB4_139
.LBB4_112:
                                        ; implicit-def: $vgpr2_vgpr3
	s_cbranch_execz .LBB4_139
; %bb.113:
	v_readfirstlane_b32 s6, v31
	v_mov_b32_e32 v8, 0
	v_mov_b32_e32 v9, 0
	v_cmp_eq_u32_e64 s[6:7], s6, v31
	s_and_saveexec_b64 s[14:15], s[6:7]
	s_cbranch_execz .LBB4_119
; %bb.114:
	s_waitcnt vmcnt(0)
	v_mov_b32_e32 v2, 0
	global_load_dwordx2 v[5:6], v2, s[12:13] offset:24 glc
	s_waitcnt vmcnt(0)
	buffer_wbinvl1_vol
	global_load_dwordx2 v[3:4], v2, s[12:13] offset:40
	global_load_dwordx2 v[7:8], v2, s[12:13]
	s_waitcnt vmcnt(1)
	v_and_b32_e32 v3, v3, v5
	v_and_b32_e32 v4, v4, v6
	v_mul_lo_u32 v4, v4, 24
	v_mul_hi_u32 v9, v3, 24
	v_mul_lo_u32 v3, v3, 24
	v_add_u32_e32 v4, v9, v4
	s_waitcnt vmcnt(0)
	v_add_co_u32_e32 v3, vcc, v7, v3
	v_addc_co_u32_e32 v4, vcc, v8, v4, vcc
	global_load_dwordx2 v[3:4], v[3:4], off glc
	s_waitcnt vmcnt(0)
	global_atomic_cmpswap_x2 v[8:9], v2, v[3:6], s[12:13] offset:24 glc
	s_waitcnt vmcnt(0)
	buffer_wbinvl1_vol
	v_cmp_ne_u64_e32 vcc, v[8:9], v[5:6]
	s_and_saveexec_b64 s[16:17], vcc
	s_cbranch_execz .LBB4_118
; %bb.115:
	s_mov_b64 s[18:19], 0
.LBB4_116:                              ; =>This Inner Loop Header: Depth=1
	s_sleep 1
	global_load_dwordx2 v[3:4], v2, s[12:13] offset:40
	global_load_dwordx2 v[10:11], v2, s[12:13]
	v_mov_b32_e32 v5, v8
	v_mov_b32_e32 v6, v9
	s_waitcnt vmcnt(1)
	v_and_b32_e32 v3, v3, v5
	s_waitcnt vmcnt(0)
	v_mad_u64_u32 v[7:8], s[20:21], v3, 24, v[10:11]
	v_and_b32_e32 v4, v4, v6
	v_mov_b32_e32 v3, v8
	v_mad_u64_u32 v[3:4], s[20:21], v4, 24, v[3:4]
	v_mov_b32_e32 v8, v3
	global_load_dwordx2 v[3:4], v[7:8], off glc
	s_waitcnt vmcnt(0)
	global_atomic_cmpswap_x2 v[8:9], v2, v[3:6], s[12:13] offset:24 glc
	s_waitcnt vmcnt(0)
	buffer_wbinvl1_vol
	v_cmp_eq_u64_e32 vcc, v[8:9], v[5:6]
	s_or_b64 s[18:19], vcc, s[18:19]
	s_andn2_b64 exec, exec, s[18:19]
	s_cbranch_execnz .LBB4_116
; %bb.117:
	s_or_b64 exec, exec, s[18:19]
.LBB4_118:
	s_or_b64 exec, exec, s[16:17]
.LBB4_119:
	s_or_b64 exec, exec, s[14:15]
	s_waitcnt vmcnt(0)
	v_mov_b32_e32 v2, 0
	global_load_dwordx2 v[10:11], v2, s[12:13] offset:40
	global_load_dwordx4 v[4:7], v2, s[12:13]
	v_readfirstlane_b32 s15, v9
	v_readfirstlane_b32 s14, v8
	s_mov_b64 s[16:17], exec
	s_waitcnt vmcnt(1)
	v_readfirstlane_b32 s18, v10
	v_readfirstlane_b32 s19, v11
	s_and_b64 s[18:19], s[18:19], s[14:15]
	s_mul_i32 s20, s19, 24
	s_mul_hi_u32 s21, s18, 24
	s_mul_i32 s22, s18, 24
	s_add_i32 s20, s21, s20
	v_mov_b32_e32 v3, s20
	s_waitcnt vmcnt(0)
	v_add_co_u32_e32 v8, vcc, s22, v4
	v_addc_co_u32_e32 v9, vcc, v5, v3, vcc
	s_and_saveexec_b64 s[20:21], s[6:7]
	s_cbranch_execz .LBB4_121
; %bb.120:
	v_mov_b32_e32 v10, s16
	v_mov_b32_e32 v11, s17
	;; [unrolled: 1-line block ×4, first 2 shown]
	global_store_dwordx4 v[8:9], v[10:13], off offset:8
.LBB4_121:
	s_or_b64 exec, exec, s[20:21]
	s_lshl_b64 s[16:17], s[18:19], 12
	v_mov_b32_e32 v3, s17
	v_add_co_u32_e32 v10, vcc, s16, v6
	v_addc_co_u32_e32 v11, vcc, v7, v3, vcc
	s_movk_i32 s16, 0xff1f
	v_and_or_b32 v0, v0, s16, 32
	s_mov_b32 s16, 0
	v_mov_b32_e32 v3, v2
	v_readfirstlane_b32 s20, v10
	v_readfirstlane_b32 s21, v11
	v_add_co_u32_e32 v6, vcc, v10, v30
	s_mov_b32 s17, s16
	s_mov_b32 s18, s16
	;; [unrolled: 1-line block ×3, first 2 shown]
	s_nop 0
	global_store_dwordx4 v30, v[0:3], s[20:21]
	v_addc_co_u32_e32 v7, vcc, 0, v11, vcc
	v_mov_b32_e32 v0, s16
	v_mov_b32_e32 v1, s17
	v_mov_b32_e32 v2, s18
	v_mov_b32_e32 v3, s19
	global_store_dwordx4 v30, v[0:3], s[20:21] offset:16
	global_store_dwordx4 v30, v[0:3], s[20:21] offset:32
	;; [unrolled: 1-line block ×3, first 2 shown]
	s_and_saveexec_b64 s[16:17], s[6:7]
	s_cbranch_execz .LBB4_129
; %bb.122:
	v_mov_b32_e32 v10, 0
	global_load_dwordx2 v[13:14], v10, s[12:13] offset:32 glc
	global_load_dwordx2 v[0:1], v10, s[12:13] offset:40
	v_mov_b32_e32 v11, s14
	v_mov_b32_e32 v12, s15
	s_waitcnt vmcnt(0)
	v_readfirstlane_b32 s18, v0
	v_readfirstlane_b32 s19, v1
	s_and_b64 s[18:19], s[18:19], s[14:15]
	s_mul_i32 s19, s19, 24
	s_mul_hi_u32 s20, s18, 24
	s_mul_i32 s18, s18, 24
	s_add_i32 s19, s20, s19
	v_mov_b32_e32 v0, s19
	v_add_co_u32_e32 v4, vcc, s18, v4
	v_addc_co_u32_e32 v5, vcc, v5, v0, vcc
	global_store_dwordx2 v[4:5], v[13:14], off
	s_waitcnt vmcnt(0)
	global_atomic_cmpswap_x2 v[2:3], v10, v[11:14], s[12:13] offset:32 glc
	s_waitcnt vmcnt(0)
	v_cmp_ne_u64_e32 vcc, v[2:3], v[13:14]
	s_and_saveexec_b64 s[18:19], vcc
	s_cbranch_execz .LBB4_125
; %bb.123:
	s_mov_b64 s[20:21], 0
.LBB4_124:                              ; =>This Inner Loop Header: Depth=1
	s_sleep 1
	global_store_dwordx2 v[4:5], v[2:3], off
	v_mov_b32_e32 v0, s14
	v_mov_b32_e32 v1, s15
	s_waitcnt vmcnt(0)
	global_atomic_cmpswap_x2 v[0:1], v10, v[0:3], s[12:13] offset:32 glc
	s_waitcnt vmcnt(0)
	v_cmp_eq_u64_e32 vcc, v[0:1], v[2:3]
	v_mov_b32_e32 v3, v1
	s_or_b64 s[20:21], vcc, s[20:21]
	v_mov_b32_e32 v2, v0
	s_andn2_b64 exec, exec, s[20:21]
	s_cbranch_execnz .LBB4_124
.LBB4_125:
	s_or_b64 exec, exec, s[18:19]
	v_mov_b32_e32 v3, 0
	global_load_dwordx2 v[0:1], v3, s[12:13] offset:16
	s_mov_b64 s[18:19], exec
	v_mbcnt_lo_u32_b32 v2, s18, 0
	v_mbcnt_hi_u32_b32 v2, s19, v2
	v_cmp_eq_u32_e32 vcc, 0, v2
	s_and_saveexec_b64 s[20:21], vcc
	s_cbranch_execz .LBB4_127
; %bb.126:
	s_bcnt1_i32_b64 s18, s[18:19]
	v_mov_b32_e32 v2, s18
	s_waitcnt vmcnt(0)
	global_atomic_add_x2 v[0:1], v[2:3], off offset:8
.LBB4_127:
	s_or_b64 exec, exec, s[20:21]
	s_waitcnt vmcnt(0)
	global_load_dwordx2 v[2:3], v[0:1], off offset:16
	s_waitcnt vmcnt(0)
	v_cmp_eq_u64_e32 vcc, 0, v[2:3]
	s_cbranch_vccnz .LBB4_129
; %bb.128:
	global_load_dword v0, v[0:1], off offset:24
	v_mov_b32_e32 v1, 0
	s_waitcnt vmcnt(0)
	v_readfirstlane_b32 s18, v0
	s_and_b32 m0, s18, 0xffffff
	global_store_dwordx2 v[2:3], v[0:1], off
	s_sendmsg sendmsg(MSG_INTERRUPT)
.LBB4_129:
	s_or_b64 exec, exec, s[16:17]
	s_branch .LBB4_133
.LBB4_130:                              ;   in Loop: Header=BB4_133 Depth=1
	s_or_b64 exec, exec, s[16:17]
	v_readfirstlane_b32 s16, v0
	s_cmp_eq_u32 s16, 0
	s_cbranch_scc1 .LBB4_132
; %bb.131:                              ;   in Loop: Header=BB4_133 Depth=1
	s_sleep 1
	s_cbranch_execnz .LBB4_133
	s_branch .LBB4_135
.LBB4_132:
	s_branch .LBB4_135
.LBB4_133:                              ; =>This Inner Loop Header: Depth=1
	v_mov_b32_e32 v0, 1
	s_and_saveexec_b64 s[16:17], s[6:7]
	s_cbranch_execz .LBB4_130
; %bb.134:                              ;   in Loop: Header=BB4_133 Depth=1
	global_load_dword v0, v[8:9], off offset:20 glc
	s_waitcnt vmcnt(0)
	buffer_wbinvl1_vol
	v_and_b32_e32 v0, 1, v0
	s_branch .LBB4_130
.LBB4_135:
	global_load_dwordx2 v[2:3], v[6:7], off
	s_and_saveexec_b64 s[16:17], s[6:7]
	s_cbranch_execz .LBB4_138
; %bb.136:
	v_mov_b32_e32 v8, 0
	global_load_dwordx2 v[0:1], v8, s[12:13] offset:40
	global_load_dwordx2 v[11:12], v8, s[12:13] offset:24 glc
	global_load_dwordx2 v[4:5], v8, s[12:13]
	s_waitcnt vmcnt(2)
	v_readfirstlane_b32 s18, v0
	v_readfirstlane_b32 s19, v1
	s_add_u32 s20, s18, 1
	s_addc_u32 s21, s19, 0
	s_add_u32 s6, s20, s14
	s_addc_u32 s7, s21, s15
	s_cmp_eq_u64 s[6:7], 0
	s_cselect_b32 s7, s21, s7
	s_cselect_b32 s6, s20, s6
	s_and_b64 s[14:15], s[6:7], s[18:19]
	s_mul_i32 s15, s15, 24
	s_mul_hi_u32 s18, s14, 24
	s_mul_i32 s14, s14, 24
	s_add_i32 s15, s18, s15
	v_mov_b32_e32 v1, s15
	s_waitcnt vmcnt(0)
	v_add_co_u32_e32 v0, vcc, s14, v4
	v_addc_co_u32_e32 v1, vcc, v5, v1, vcc
	v_mov_b32_e32 v9, s6
	global_store_dwordx2 v[0:1], v[11:12], off
	v_mov_b32_e32 v10, s7
	s_waitcnt vmcnt(0)
	global_atomic_cmpswap_x2 v[6:7], v8, v[9:12], s[12:13] offset:24 glc
	s_mov_b64 s[14:15], 0
	s_waitcnt vmcnt(0)
	v_cmp_ne_u64_e32 vcc, v[6:7], v[11:12]
	s_and_b64 exec, exec, vcc
	s_cbranch_execz .LBB4_138
.LBB4_137:                              ; =>This Inner Loop Header: Depth=1
	s_sleep 1
	global_store_dwordx2 v[0:1], v[6:7], off
	v_mov_b32_e32 v4, s6
	v_mov_b32_e32 v5, s7
	s_waitcnt vmcnt(0)
	global_atomic_cmpswap_x2 v[4:5], v8, v[4:7], s[12:13] offset:24 glc
	s_waitcnt vmcnt(0)
	v_cmp_eq_u64_e32 vcc, v[4:5], v[6:7]
	v_mov_b32_e32 v7, v5
	s_or_b64 s[14:15], vcc, s[14:15]
	v_mov_b32_e32 v6, v4
	s_andn2_b64 exec, exec, s[14:15]
	s_cbranch_execnz .LBB4_137
.LBB4_138:
	s_or_b64 exec, exec, s[16:17]
.LBB4_139:
	v_readfirstlane_b32 s6, v31
	s_waitcnt vmcnt(0)
	v_mov_b32_e32 v0, 0
	v_mov_b32_e32 v1, 0
	v_cmp_eq_u32_e64 s[6:7], s6, v31
	s_and_saveexec_b64 s[14:15], s[6:7]
	s_cbranch_execz .LBB4_145
; %bb.140:
	v_mov_b32_e32 v4, 0
	global_load_dwordx2 v[7:8], v4, s[12:13] offset:24 glc
	s_waitcnt vmcnt(0)
	buffer_wbinvl1_vol
	global_load_dwordx2 v[0:1], v4, s[12:13] offset:40
	global_load_dwordx2 v[5:6], v4, s[12:13]
	s_waitcnt vmcnt(1)
	v_and_b32_e32 v0, v0, v7
	v_and_b32_e32 v1, v1, v8
	v_mul_lo_u32 v1, v1, 24
	v_mul_hi_u32 v9, v0, 24
	v_mul_lo_u32 v0, v0, 24
	v_add_u32_e32 v1, v9, v1
	s_waitcnt vmcnt(0)
	v_add_co_u32_e32 v0, vcc, v5, v0
	v_addc_co_u32_e32 v1, vcc, v6, v1, vcc
	global_load_dwordx2 v[5:6], v[0:1], off glc
	s_waitcnt vmcnt(0)
	global_atomic_cmpswap_x2 v[0:1], v4, v[5:8], s[12:13] offset:24 glc
	s_waitcnt vmcnt(0)
	buffer_wbinvl1_vol
	v_cmp_ne_u64_e32 vcc, v[0:1], v[7:8]
	s_and_saveexec_b64 s[16:17], vcc
	s_cbranch_execz .LBB4_144
; %bb.141:
	s_mov_b64 s[18:19], 0
.LBB4_142:                              ; =>This Inner Loop Header: Depth=1
	s_sleep 1
	global_load_dwordx2 v[5:6], v4, s[12:13] offset:40
	global_load_dwordx2 v[9:10], v4, s[12:13]
	v_mov_b32_e32 v8, v1
	v_mov_b32_e32 v7, v0
	s_waitcnt vmcnt(1)
	v_and_b32_e32 v0, v5, v7
	s_waitcnt vmcnt(0)
	v_mad_u64_u32 v[0:1], s[20:21], v0, 24, v[9:10]
	v_and_b32_e32 v5, v6, v8
	v_mad_u64_u32 v[5:6], s[20:21], v5, 24, v[1:2]
	v_mov_b32_e32 v1, v5
	global_load_dwordx2 v[5:6], v[0:1], off glc
	s_waitcnt vmcnt(0)
	global_atomic_cmpswap_x2 v[0:1], v4, v[5:8], s[12:13] offset:24 glc
	s_waitcnt vmcnt(0)
	buffer_wbinvl1_vol
	v_cmp_eq_u64_e32 vcc, v[0:1], v[7:8]
	s_or_b64 s[18:19], vcc, s[18:19]
	s_andn2_b64 exec, exec, s[18:19]
	s_cbranch_execnz .LBB4_142
; %bb.143:
	s_or_b64 exec, exec, s[18:19]
.LBB4_144:
	s_or_b64 exec, exec, s[16:17]
.LBB4_145:
	s_or_b64 exec, exec, s[14:15]
	v_mov_b32_e32 v5, 0
	global_load_dwordx2 v[10:11], v5, s[12:13] offset:40
	global_load_dwordx4 v[6:9], v5, s[12:13]
	v_readfirstlane_b32 s15, v1
	v_readfirstlane_b32 s14, v0
	s_mov_b64 s[16:17], exec
	s_waitcnt vmcnt(1)
	v_readfirstlane_b32 s18, v10
	v_readfirstlane_b32 s19, v11
	s_and_b64 s[18:19], s[18:19], s[14:15]
	s_mul_i32 s20, s19, 24
	s_mul_hi_u32 s21, s18, 24
	s_mul_i32 s22, s18, 24
	s_add_i32 s20, s21, s20
	v_mov_b32_e32 v0, s20
	s_waitcnt vmcnt(0)
	v_add_co_u32_e32 v10, vcc, s22, v6
	v_addc_co_u32_e32 v11, vcc, v7, v0, vcc
	s_and_saveexec_b64 s[20:21], s[6:7]
	s_cbranch_execz .LBB4_147
; %bb.146:
	v_mov_b32_e32 v12, s16
	v_mov_b32_e32 v13, s17
	;; [unrolled: 1-line block ×4, first 2 shown]
	global_store_dwordx4 v[10:11], v[12:15], off offset:8
.LBB4_147:
	s_or_b64 exec, exec, s[20:21]
	s_lshl_b64 s[16:17], s[18:19], 12
	v_mov_b32_e32 v0, s17
	v_add_co_u32_e32 v1, vcc, s16, v8
	s_mul_i32 s16, s28, s29
	s_and_b32 s17, 0xffff, s30
	s_mul_i32 s16, s16, s17
	v_addc_co_u32_e32 v0, vcc, v9, v0, vcc
	s_lshr_b32 s17, s16, 5
	s_movk_i32 s18, 0xff1f
	s_mov_b32 s16, 0
	v_and_or_b32 v2, v2, s18, 32
	v_add_co_u32_e32 v8, vcc, v1, v30
	v_mov_b32_e32 v4, s17
	v_readfirstlane_b32 s20, v1
	v_readfirstlane_b32 s21, v0
	v_addc_co_u32_e32 v9, vcc, 0, v0, vcc
	s_mov_b32 s17, s16
	s_mov_b32 s18, s16
	;; [unrolled: 1-line block ×3, first 2 shown]
	s_nop 0
	global_store_dwordx4 v30, v[2:5], s[20:21]
	v_mov_b32_e32 v0, s16
	v_mov_b32_e32 v1, s17
	v_mov_b32_e32 v2, s18
	v_mov_b32_e32 v3, s19
	global_store_dwordx4 v30, v[0:3], s[20:21] offset:16
	global_store_dwordx4 v30, v[0:3], s[20:21] offset:32
	;; [unrolled: 1-line block ×3, first 2 shown]
	s_and_saveexec_b64 s[16:17], s[6:7]
	s_cbranch_execz .LBB4_155
; %bb.148:
	v_mov_b32_e32 v12, 0
	global_load_dwordx2 v[15:16], v12, s[12:13] offset:32 glc
	global_load_dwordx2 v[0:1], v12, s[12:13] offset:40
	v_mov_b32_e32 v13, s14
	v_mov_b32_e32 v14, s15
	s_waitcnt vmcnt(0)
	v_readfirstlane_b32 s18, v0
	v_readfirstlane_b32 s19, v1
	s_and_b64 s[18:19], s[18:19], s[14:15]
	s_mul_i32 s19, s19, 24
	s_mul_hi_u32 s20, s18, 24
	s_mul_i32 s18, s18, 24
	s_add_i32 s19, s20, s19
	v_mov_b32_e32 v0, s19
	v_add_co_u32_e32 v4, vcc, s18, v6
	v_addc_co_u32_e32 v5, vcc, v7, v0, vcc
	global_store_dwordx2 v[4:5], v[15:16], off
	s_waitcnt vmcnt(0)
	global_atomic_cmpswap_x2 v[2:3], v12, v[13:16], s[12:13] offset:32 glc
	s_waitcnt vmcnt(0)
	v_cmp_ne_u64_e32 vcc, v[2:3], v[15:16]
	s_and_saveexec_b64 s[18:19], vcc
	s_cbranch_execz .LBB4_151
; %bb.149:
	s_mov_b64 s[20:21], 0
.LBB4_150:                              ; =>This Inner Loop Header: Depth=1
	s_sleep 1
	global_store_dwordx2 v[4:5], v[2:3], off
	v_mov_b32_e32 v0, s14
	v_mov_b32_e32 v1, s15
	s_waitcnt vmcnt(0)
	global_atomic_cmpswap_x2 v[0:1], v12, v[0:3], s[12:13] offset:32 glc
	s_waitcnt vmcnt(0)
	v_cmp_eq_u64_e32 vcc, v[0:1], v[2:3]
	v_mov_b32_e32 v3, v1
	s_or_b64 s[20:21], vcc, s[20:21]
	v_mov_b32_e32 v2, v0
	s_andn2_b64 exec, exec, s[20:21]
	s_cbranch_execnz .LBB4_150
.LBB4_151:
	s_or_b64 exec, exec, s[18:19]
	v_mov_b32_e32 v3, 0
	global_load_dwordx2 v[0:1], v3, s[12:13] offset:16
	s_mov_b64 s[18:19], exec
	v_mbcnt_lo_u32_b32 v2, s18, 0
	v_mbcnt_hi_u32_b32 v2, s19, v2
	v_cmp_eq_u32_e32 vcc, 0, v2
	s_and_saveexec_b64 s[20:21], vcc
	s_cbranch_execz .LBB4_153
; %bb.152:
	s_bcnt1_i32_b64 s18, s[18:19]
	v_mov_b32_e32 v2, s18
	s_waitcnt vmcnt(0)
	global_atomic_add_x2 v[0:1], v[2:3], off offset:8
.LBB4_153:
	s_or_b64 exec, exec, s[20:21]
	s_waitcnt vmcnt(0)
	global_load_dwordx2 v[2:3], v[0:1], off offset:16
	s_waitcnt vmcnt(0)
	v_cmp_eq_u64_e32 vcc, 0, v[2:3]
	s_cbranch_vccnz .LBB4_155
; %bb.154:
	global_load_dword v0, v[0:1], off offset:24
	v_mov_b32_e32 v1, 0
	s_waitcnt vmcnt(0)
	v_readfirstlane_b32 s18, v0
	s_and_b32 m0, s18, 0xffffff
	global_store_dwordx2 v[2:3], v[0:1], off
	s_sendmsg sendmsg(MSG_INTERRUPT)
.LBB4_155:
	s_or_b64 exec, exec, s[16:17]
	s_branch .LBB4_159
.LBB4_156:                              ;   in Loop: Header=BB4_159 Depth=1
	s_or_b64 exec, exec, s[16:17]
	v_readfirstlane_b32 s16, v0
	s_cmp_eq_u32 s16, 0
	s_cbranch_scc1 .LBB4_158
; %bb.157:                              ;   in Loop: Header=BB4_159 Depth=1
	s_sleep 1
	s_cbranch_execnz .LBB4_159
	s_branch .LBB4_161
.LBB4_158:
	s_branch .LBB4_161
.LBB4_159:                              ; =>This Inner Loop Header: Depth=1
	v_mov_b32_e32 v0, 1
	s_and_saveexec_b64 s[16:17], s[6:7]
	s_cbranch_execz .LBB4_156
; %bb.160:                              ;   in Loop: Header=BB4_159 Depth=1
	global_load_dword v0, v[10:11], off offset:20 glc
	s_waitcnt vmcnt(0)
	buffer_wbinvl1_vol
	v_and_b32_e32 v0, 1, v0
	s_branch .LBB4_156
.LBB4_161:
	global_load_dwordx2 v[0:1], v[8:9], off
	s_and_saveexec_b64 s[16:17], s[6:7]
	s_cbranch_execz .LBB4_164
; %bb.162:
	v_mov_b32_e32 v8, 0
	global_load_dwordx2 v[2:3], v8, s[12:13] offset:40
	global_load_dwordx2 v[11:12], v8, s[12:13] offset:24 glc
	global_load_dwordx2 v[4:5], v8, s[12:13]
	s_waitcnt vmcnt(2)
	v_readfirstlane_b32 s18, v2
	v_readfirstlane_b32 s19, v3
	s_add_u32 s20, s18, 1
	s_addc_u32 s21, s19, 0
	s_add_u32 s6, s20, s14
	s_addc_u32 s7, s21, s15
	s_cmp_eq_u64 s[6:7], 0
	s_cselect_b32 s7, s21, s7
	s_cselect_b32 s6, s20, s6
	s_and_b64 s[14:15], s[6:7], s[18:19]
	s_mul_i32 s15, s15, 24
	s_mul_hi_u32 s18, s14, 24
	s_mul_i32 s14, s14, 24
	s_add_i32 s15, s18, s15
	v_mov_b32_e32 v2, s15
	s_waitcnt vmcnt(0)
	v_add_co_u32_e32 v6, vcc, s14, v4
	v_addc_co_u32_e32 v7, vcc, v5, v2, vcc
	v_mov_b32_e32 v9, s6
	global_store_dwordx2 v[6:7], v[11:12], off
	v_mov_b32_e32 v10, s7
	s_waitcnt vmcnt(0)
	global_atomic_cmpswap_x2 v[4:5], v8, v[9:12], s[12:13] offset:24 glc
	s_mov_b64 s[14:15], 0
	s_waitcnt vmcnt(0)
	v_cmp_ne_u64_e32 vcc, v[4:5], v[11:12]
	s_and_b64 exec, exec, vcc
	s_cbranch_execz .LBB4_164
.LBB4_163:                              ; =>This Inner Loop Header: Depth=1
	s_sleep 1
	global_store_dwordx2 v[6:7], v[4:5], off
	v_mov_b32_e32 v2, s6
	v_mov_b32_e32 v3, s7
	s_waitcnt vmcnt(0)
	global_atomic_cmpswap_x2 v[2:3], v8, v[2:5], s[12:13] offset:24 glc
	s_waitcnt vmcnt(0)
	v_cmp_eq_u64_e32 vcc, v[2:3], v[4:5]
	v_mov_b32_e32 v5, v3
	s_or_b64 s[14:15], vcc, s[14:15]
	v_mov_b32_e32 v4, v2
	s_andn2_b64 exec, exec, s[14:15]
	s_cbranch_execnz .LBB4_163
.LBB4_164:
	s_or_b64 exec, exec, s[16:17]
	v_readfirstlane_b32 s6, v31
	v_mov_b32_e32 v8, 0
	v_mov_b32_e32 v9, 0
	v_cmp_eq_u32_e64 s[6:7], s6, v31
	s_and_saveexec_b64 s[14:15], s[6:7]
	s_cbranch_execz .LBB4_170
; %bb.165:
	v_mov_b32_e32 v2, 0
	global_load_dwordx2 v[5:6], v2, s[12:13] offset:24 glc
	s_waitcnt vmcnt(0)
	buffer_wbinvl1_vol
	global_load_dwordx2 v[3:4], v2, s[12:13] offset:40
	global_load_dwordx2 v[7:8], v2, s[12:13]
	s_waitcnt vmcnt(1)
	v_and_b32_e32 v3, v3, v5
	v_and_b32_e32 v4, v4, v6
	v_mul_lo_u32 v4, v4, 24
	v_mul_hi_u32 v9, v3, 24
	v_mul_lo_u32 v3, v3, 24
	v_add_u32_e32 v4, v9, v4
	s_waitcnt vmcnt(0)
	v_add_co_u32_e32 v3, vcc, v7, v3
	v_addc_co_u32_e32 v4, vcc, v8, v4, vcc
	global_load_dwordx2 v[3:4], v[3:4], off glc
	s_waitcnt vmcnt(0)
	global_atomic_cmpswap_x2 v[8:9], v2, v[3:6], s[12:13] offset:24 glc
	s_waitcnt vmcnt(0)
	buffer_wbinvl1_vol
	v_cmp_ne_u64_e32 vcc, v[8:9], v[5:6]
	s_and_saveexec_b64 s[16:17], vcc
	s_cbranch_execz .LBB4_169
; %bb.166:
	s_mov_b64 s[18:19], 0
.LBB4_167:                              ; =>This Inner Loop Header: Depth=1
	s_sleep 1
	global_load_dwordx2 v[3:4], v2, s[12:13] offset:40
	global_load_dwordx2 v[10:11], v2, s[12:13]
	v_mov_b32_e32 v5, v8
	v_mov_b32_e32 v6, v9
	s_waitcnt vmcnt(1)
	v_and_b32_e32 v3, v3, v5
	s_waitcnt vmcnt(0)
	v_mad_u64_u32 v[7:8], s[20:21], v3, 24, v[10:11]
	v_and_b32_e32 v4, v4, v6
	v_mov_b32_e32 v3, v8
	v_mad_u64_u32 v[3:4], s[20:21], v4, 24, v[3:4]
	v_mov_b32_e32 v8, v3
	global_load_dwordx2 v[3:4], v[7:8], off glc
	s_waitcnt vmcnt(0)
	global_atomic_cmpswap_x2 v[8:9], v2, v[3:6], s[12:13] offset:24 glc
	s_waitcnt vmcnt(0)
	buffer_wbinvl1_vol
	v_cmp_eq_u64_e32 vcc, v[8:9], v[5:6]
	s_or_b64 s[18:19], vcc, s[18:19]
	s_andn2_b64 exec, exec, s[18:19]
	s_cbranch_execnz .LBB4_167
; %bb.168:
	s_or_b64 exec, exec, s[18:19]
.LBB4_169:
	s_or_b64 exec, exec, s[16:17]
.LBB4_170:
	s_or_b64 exec, exec, s[14:15]
	v_mov_b32_e32 v3, 0
	global_load_dwordx2 v[10:11], v3, s[12:13] offset:40
	global_load_dwordx4 v[4:7], v3, s[12:13]
	v_readfirstlane_b32 s15, v9
	v_readfirstlane_b32 s14, v8
	s_mov_b64 s[16:17], exec
	s_waitcnt vmcnt(1)
	v_readfirstlane_b32 s18, v10
	v_readfirstlane_b32 s19, v11
	s_and_b64 s[18:19], s[18:19], s[14:15]
	s_mul_i32 s20, s19, 24
	s_mul_hi_u32 s21, s18, 24
	s_mul_i32 s22, s18, 24
	s_add_i32 s20, s21, s20
	v_mov_b32_e32 v2, s20
	s_waitcnt vmcnt(0)
	v_add_co_u32_e32 v8, vcc, s22, v4
	v_addc_co_u32_e32 v9, vcc, v5, v2, vcc
	s_and_saveexec_b64 s[20:21], s[6:7]
	s_cbranch_execz .LBB4_172
; %bb.171:
	v_mov_b32_e32 v10, s16
	v_mov_b32_e32 v11, s17
	;; [unrolled: 1-line block ×4, first 2 shown]
	global_store_dwordx4 v[8:9], v[10:13], off offset:8
.LBB4_172:
	s_or_b64 exec, exec, s[20:21]
	s_lshl_b64 s[16:17], s[18:19], 12
	v_mov_b32_e32 v2, s17
	v_add_co_u32_e32 v6, vcc, s16, v6
	v_addc_co_u32_e32 v7, vcc, v7, v2, vcc
	s_movk_i32 s16, 0xff1d
	v_and_or_b32 v0, v0, s16, 34
	s_mov_b32 s16, 0
	v_mov_b32_e32 v2, 32
	v_readfirstlane_b32 s20, v6
	v_readfirstlane_b32 s21, v7
	s_mov_b32 s17, s16
	s_mov_b32 s18, s16
	;; [unrolled: 1-line block ×3, first 2 shown]
	s_nop 1
	global_store_dwordx4 v30, v[0:3], s[20:21]
	s_nop 0
	v_mov_b32_e32 v0, s16
	v_mov_b32_e32 v1, s17
	v_mov_b32_e32 v2, s18
	v_mov_b32_e32 v3, s19
	global_store_dwordx4 v30, v[0:3], s[20:21] offset:16
	global_store_dwordx4 v30, v[0:3], s[20:21] offset:32
	;; [unrolled: 1-line block ×3, first 2 shown]
	s_and_saveexec_b64 s[16:17], s[6:7]
	s_cbranch_execz .LBB4_180
; %bb.173:
	v_mov_b32_e32 v6, 0
	global_load_dwordx2 v[12:13], v6, s[12:13] offset:32 glc
	global_load_dwordx2 v[0:1], v6, s[12:13] offset:40
	v_mov_b32_e32 v10, s14
	v_mov_b32_e32 v11, s15
	s_waitcnt vmcnt(0)
	v_readfirstlane_b32 s18, v0
	v_readfirstlane_b32 s19, v1
	s_and_b64 s[18:19], s[18:19], s[14:15]
	s_mul_i32 s19, s19, 24
	s_mul_hi_u32 s20, s18, 24
	s_mul_i32 s18, s18, 24
	s_add_i32 s19, s20, s19
	v_mov_b32_e32 v0, s19
	v_add_co_u32_e32 v4, vcc, s18, v4
	v_addc_co_u32_e32 v5, vcc, v5, v0, vcc
	global_store_dwordx2 v[4:5], v[12:13], off
	s_waitcnt vmcnt(0)
	global_atomic_cmpswap_x2 v[2:3], v6, v[10:13], s[12:13] offset:32 glc
	s_waitcnt vmcnt(0)
	v_cmp_ne_u64_e32 vcc, v[2:3], v[12:13]
	s_and_saveexec_b64 s[18:19], vcc
	s_cbranch_execz .LBB4_176
; %bb.174:
	s_mov_b64 s[20:21], 0
.LBB4_175:                              ; =>This Inner Loop Header: Depth=1
	s_sleep 1
	global_store_dwordx2 v[4:5], v[2:3], off
	v_mov_b32_e32 v0, s14
	v_mov_b32_e32 v1, s15
	s_waitcnt vmcnt(0)
	global_atomic_cmpswap_x2 v[0:1], v6, v[0:3], s[12:13] offset:32 glc
	s_waitcnt vmcnt(0)
	v_cmp_eq_u64_e32 vcc, v[0:1], v[2:3]
	v_mov_b32_e32 v3, v1
	s_or_b64 s[20:21], vcc, s[20:21]
	v_mov_b32_e32 v2, v0
	s_andn2_b64 exec, exec, s[20:21]
	s_cbranch_execnz .LBB4_175
.LBB4_176:
	s_or_b64 exec, exec, s[18:19]
	v_mov_b32_e32 v3, 0
	global_load_dwordx2 v[0:1], v3, s[12:13] offset:16
	s_mov_b64 s[18:19], exec
	v_mbcnt_lo_u32_b32 v2, s18, 0
	v_mbcnt_hi_u32_b32 v2, s19, v2
	v_cmp_eq_u32_e32 vcc, 0, v2
	s_and_saveexec_b64 s[20:21], vcc
	s_cbranch_execz .LBB4_178
; %bb.177:
	s_bcnt1_i32_b64 s18, s[18:19]
	v_mov_b32_e32 v2, s18
	s_waitcnt vmcnt(0)
	global_atomic_add_x2 v[0:1], v[2:3], off offset:8
.LBB4_178:
	s_or_b64 exec, exec, s[20:21]
	s_waitcnt vmcnt(0)
	global_load_dwordx2 v[2:3], v[0:1], off offset:16
	s_waitcnt vmcnt(0)
	v_cmp_eq_u64_e32 vcc, 0, v[2:3]
	s_cbranch_vccnz .LBB4_180
; %bb.179:
	global_load_dword v0, v[0:1], off offset:24
	v_mov_b32_e32 v1, 0
	s_waitcnt vmcnt(0)
	v_readfirstlane_b32 s18, v0
	s_and_b32 m0, s18, 0xffffff
	global_store_dwordx2 v[2:3], v[0:1], off
	s_sendmsg sendmsg(MSG_INTERRUPT)
.LBB4_180:
	s_or_b64 exec, exec, s[16:17]
	s_branch .LBB4_184
.LBB4_181:                              ;   in Loop: Header=BB4_184 Depth=1
	s_or_b64 exec, exec, s[16:17]
	v_readfirstlane_b32 s16, v0
	s_cmp_eq_u32 s16, 0
	s_cbranch_scc1 .LBB4_183
; %bb.182:                              ;   in Loop: Header=BB4_184 Depth=1
	s_sleep 1
	s_cbranch_execnz .LBB4_184
	s_branch .LBB4_186
.LBB4_183:
	s_branch .LBB4_186
.LBB4_184:                              ; =>This Inner Loop Header: Depth=1
	v_mov_b32_e32 v0, 1
	s_and_saveexec_b64 s[16:17], s[6:7]
	s_cbranch_execz .LBB4_181
; %bb.185:                              ;   in Loop: Header=BB4_184 Depth=1
	global_load_dword v0, v[8:9], off offset:20 glc
	s_waitcnt vmcnt(0)
	buffer_wbinvl1_vol
	v_and_b32_e32 v0, 1, v0
	s_branch .LBB4_181
.LBB4_186:
	s_and_b64 exec, exec, s[6:7]
	s_cbranch_execz .LBB4_189
; %bb.187:
	v_mov_b32_e32 v6, 0
	global_load_dwordx2 v[0:1], v6, s[12:13] offset:40
	global_load_dwordx2 v[9:10], v6, s[12:13] offset:24 glc
	global_load_dwordx2 v[2:3], v6, s[12:13]
	s_waitcnt vmcnt(2)
	v_readfirstlane_b32 s16, v0
	v_readfirstlane_b32 s17, v1
	s_add_u32 s18, s16, 1
	s_addc_u32 s19, s17, 0
	s_add_u32 s6, s18, s14
	s_addc_u32 s7, s19, s15
	s_cmp_eq_u64 s[6:7], 0
	s_cselect_b32 s7, s19, s7
	s_cselect_b32 s6, s18, s6
	s_and_b64 s[14:15], s[6:7], s[16:17]
	s_mul_i32 s15, s15, 24
	s_mul_hi_u32 s16, s14, 24
	s_mul_i32 s14, s14, 24
	s_add_i32 s15, s16, s15
	v_mov_b32_e32 v0, s15
	s_waitcnt vmcnt(0)
	v_add_co_u32_e32 v4, vcc, s14, v2
	v_addc_co_u32_e32 v5, vcc, v3, v0, vcc
	v_mov_b32_e32 v7, s6
	global_store_dwordx2 v[4:5], v[9:10], off
	v_mov_b32_e32 v8, s7
	s_waitcnt vmcnt(0)
	global_atomic_cmpswap_x2 v[2:3], v6, v[7:10], s[12:13] offset:24 glc
	s_mov_b64 s[14:15], 0
	s_waitcnt vmcnt(0)
	v_cmp_ne_u64_e32 vcc, v[2:3], v[9:10]
	s_and_b64 exec, exec, vcc
	s_cbranch_execz .LBB4_189
.LBB4_188:                              ; =>This Inner Loop Header: Depth=1
	s_sleep 1
	global_store_dwordx2 v[4:5], v[2:3], off
	v_mov_b32_e32 v0, s6
	v_mov_b32_e32 v1, s7
	s_waitcnt vmcnt(0)
	global_atomic_cmpswap_x2 v[0:1], v6, v[0:3], s[12:13] offset:24 glc
	s_waitcnt vmcnt(0)
	v_cmp_eq_u64_e32 vcc, v[0:1], v[2:3]
	v_mov_b32_e32 v3, v1
	s_or_b64 s[14:15], vcc, s[14:15]
	v_mov_b32_e32 v2, v0
	s_andn2_b64 exec, exec, s[14:15]
	s_cbranch_execnz .LBB4_188
.LBB4_189:
	s_or_b64 exec, exec, s[10:11]
	s_waitcnt vmcnt(0) lgkmcnt(0)
	s_barrier
	s_load_dword s12, s[4:5], 0x8
	s_load_dwordx2 s[6:7], s[4:5], 0x0
	v_and_b32_e32 v0, 31, v29
	s_waitcnt lgkmcnt(0)
	s_cmp_lt_i32 s12, 1
	s_cbranch_scc1 .LBB4_203
; %bb.190:
	s_cmp_lt_i32 s12, 2
	s_cbranch_scc1 .LBB4_204
; %bb.191:
	s_cmp_eq_u32 s12, 2
                                        ; implicit-def: $vgpr2
	s_cbranch_scc0 .LBB4_402
; %bb.192:
	s_mov_b64 s[4:5], src_private_base
	s_mov_b32 s4, 0
	v_mov_b32_e32 v1, s4
	v_mov_b32_e32 v2, s5
	flat_store_dword v[1:2], v0
	s_waitcnt vmcnt(0)
	flat_load_dword v3, v[1:2] glc
	s_waitcnt vmcnt(0)
	v_mbcnt_lo_u32_b32 v1, -1, 0
	v_mbcnt_hi_u32_b32 v1, -1, v1
	v_and_b32_e32 v2, 0x60, v1
	v_add_u32_e32 v4, -1, v1
	v_cmp_lt_i32_e32 vcc, v4, v2
	v_cndmask_b32_e32 v4, v4, v1, vcc
	v_lshlrev_b32_e32 v4, 2, v4
	v_cmp_ne_u32_e32 vcc, 0, v0
	s_waitcnt lgkmcnt(0)
	ds_bpermute_b32 v3, v4, v3
	s_and_saveexec_b64 s[10:11], vcc
	s_cbranch_execz .LBB4_194
; %bb.193:
	v_mov_b32_e32 v4, s4
	v_mov_b32_e32 v5, s5
	flat_load_dword v6, v[4:5] glc
	s_waitcnt vmcnt(0) lgkmcnt(0)
	v_add_u32_e32 v3, v6, v3
	flat_store_dword v[4:5], v3
	s_waitcnt vmcnt(0)
.LBB4_194:
	s_or_b64 exec, exec, s[10:11]
	s_waitcnt lgkmcnt(0)
	v_mov_b32_e32 v3, s4
	v_mov_b32_e32 v4, s5
	flat_load_dword v3, v[3:4] glc
	s_waitcnt vmcnt(0)
	v_add_u32_e32 v4, -2, v1
	v_cmp_lt_i32_e32 vcc, v4, v2
	v_cndmask_b32_e32 v4, v4, v1, vcc
	v_lshlrev_b32_e32 v4, 2, v4
	v_cmp_lt_u32_e32 vcc, 1, v0
	s_waitcnt lgkmcnt(0)
	ds_bpermute_b32 v3, v4, v3
	s_and_saveexec_b64 s[10:11], vcc
	s_cbranch_execz .LBB4_196
; %bb.195:
	v_mov_b32_e32 v4, s4
	v_mov_b32_e32 v5, s5
	flat_load_dword v6, v[4:5] glc
	s_waitcnt vmcnt(0) lgkmcnt(0)
	v_add_u32_e32 v3, v6, v3
	flat_store_dword v[4:5], v3
	s_waitcnt vmcnt(0)
.LBB4_196:
	s_or_b64 exec, exec, s[10:11]
	s_waitcnt lgkmcnt(0)
	v_mov_b32_e32 v3, s4
	v_mov_b32_e32 v4, s5
	flat_load_dword v3, v[3:4] glc
	s_waitcnt vmcnt(0)
	v_add_u32_e32 v4, -4, v1
	v_cmp_lt_i32_e32 vcc, v4, v2
	v_cndmask_b32_e32 v4, v4, v1, vcc
	v_lshlrev_b32_e32 v4, 2, v4
	v_cmp_lt_u32_e32 vcc, 3, v0
	;; [unrolled: 24-line block ×4, first 2 shown]
	s_waitcnt lgkmcnt(0)
	ds_bpermute_b32 v1, v1, v3
	s_and_saveexec_b64 s[10:11], vcc
	s_cbranch_execz .LBB4_202
; %bb.201:
	v_mov_b32_e32 v2, s4
	v_mov_b32_e32 v3, s5
	flat_load_dword v4, v[2:3] glc
	s_waitcnt vmcnt(0) lgkmcnt(0)
	v_add_u32_e32 v1, v4, v1
	flat_store_dword v[2:3], v1
	s_waitcnt vmcnt(0)
.LBB4_202:
	s_or_b64 exec, exec, s[10:11]
	s_waitcnt lgkmcnt(0)
	v_mov_b32_e32 v1, s4
	v_mov_b32_e32 v2, s5
	flat_load_dword v2, v[1:2] glc
	s_waitcnt vmcnt(0)
	v_mov_b32_e32 v30, 0
	v_lshlrev_b64 v[3:4], 2, v[29:30]
	v_mov_b32_e32 v1, s7
	v_add_co_u32_e32 v3, vcc, s6, v3
	v_addc_co_u32_e32 v4, vcc, v1, v4, vcc
	s_waitcnt lgkmcnt(0)
	global_store_dword v[3:4], v2, off
	s_cbranch_execz .LBB4_205
	s_branch .LBB4_206
.LBB4_203:
                                        ; implicit-def: $vgpr2
	s_branch .LBB4_207
.LBB4_204:
                                        ; implicit-def: $vgpr2
.LBB4_205:
	v_mbcnt_lo_u32_b32 v1, -1, 0
	v_mbcnt_hi_u32_b32 v1, -1, v1
	v_and_b32_e32 v2, 0x60, v1
	v_add_u32_e32 v2, 32, v2
	v_xor_b32_e32 v3, 16, v1
	v_cmp_lt_i32_e32 vcc, v3, v2
	v_cndmask_b32_e32 v3, v1, v3, vcc
	v_lshlrev_b32_e32 v3, 2, v3
	ds_bpermute_b32 v3, v3, v0
	v_xor_b32_e32 v4, 8, v1
	v_cmp_lt_i32_e32 vcc, v4, v2
	v_cndmask_b32_e32 v4, v1, v4, vcc
	v_lshlrev_b32_e32 v4, 2, v4
	s_waitcnt lgkmcnt(0)
	v_add_u32_e32 v3, v3, v0
	ds_bpermute_b32 v4, v4, v3
	v_xor_b32_e32 v5, 4, v1
	v_cmp_lt_i32_e32 vcc, v5, v2
	s_waitcnt lgkmcnt(0)
	v_add_u32_e32 v3, v4, v3
	v_cndmask_b32_e32 v4, v1, v5, vcc
	v_lshlrev_b32_e32 v4, 2, v4
	ds_bpermute_b32 v4, v4, v3
	v_xor_b32_e32 v5, 2, v1
	v_cmp_lt_i32_e32 vcc, v5, v2
	s_waitcnt lgkmcnt(0)
	v_add_u32_e32 v3, v4, v3
	v_cndmask_b32_e32 v4, v1, v5, vcc
	v_lshlrev_b32_e32 v4, 2, v4
	ds_bpermute_b32 v4, v4, v3
	v_xor_b32_e32 v5, 1, v1
	v_cmp_lt_i32_e32 vcc, v5, v2
	v_cndmask_b32_e32 v1, v1, v5, vcc
	v_lshlrev_b32_e32 v1, 2, v1
	s_waitcnt lgkmcnt(0)
	v_add_u32_e32 v3, v4, v3
	ds_bpermute_b32 v1, v1, v3
	v_cmp_eq_u32_e32 vcc, 0, v0
	s_waitcnt lgkmcnt(0)
	v_add_u32_e32 v1, v1, v3
	v_cndmask_b32_e32 v2, -1, v1, vcc
.LBB4_206:
	s_cbranch_execnz .LBB4_211
.LBB4_207:
	s_cmp_lg_u32 s12, 0
                                        ; implicit-def: $vgpr2
	s_cbranch_scc1 .LBB4_211
; %bb.208:
	s_mov_b64 s[4:5], src_private_base
	s_mov_b32 s4, 4
	v_mov_b32_e32 v3, s4
	v_mov_b32_e32 v4, s5
	flat_store_dword v[3:4], v0
	s_waitcnt vmcnt(0)
	flat_load_dword v1, v[3:4] glc
	s_waitcnt vmcnt(0)
	flat_load_dword v2, v[3:4] glc
	s_waitcnt vmcnt(0)
	v_mbcnt_lo_u32_b32 v5, -1, 0
	v_mbcnt_hi_u32_b32 v5, -1, v5
	v_lshl_or_b32 v6, v5, 2, 64
	s_waitcnt lgkmcnt(0)
	ds_bpermute_b32 v1, v6, v1
	v_and_b32_e32 v6, 31, v5
	v_cmp_gt_u32_e32 vcc, 24, v6
	v_cndmask_b32_e64 v7, 0, 8, vcc
	v_add_lshl_u32 v7, v7, v5, 2
	s_waitcnt lgkmcnt(0)
	v_add_u32_e32 v1, v2, v1
	flat_store_dword v[3:4], v1
	s_waitcnt vmcnt(0)
	flat_load_dword v1, v[3:4] glc
	s_waitcnt vmcnt(0)
	flat_load_dword v2, v[3:4] glc
	s_waitcnt vmcnt(0)
	v_cmp_gt_u32_e32 vcc, 28, v6
	s_waitcnt lgkmcnt(0)
	ds_bpermute_b32 v1, v7, v1
	v_cndmask_b32_e64 v7, 0, 4, vcc
	v_add_lshl_u32 v7, v7, v5, 2
	v_cmp_gt_u32_e32 vcc, 30, v6
	s_waitcnt lgkmcnt(0)
	v_add_u32_e32 v1, v2, v1
	flat_store_dword v[3:4], v1
	s_waitcnt vmcnt(0)
	flat_load_dword v1, v[3:4] glc
	s_waitcnt vmcnt(0)
	flat_load_dword v2, v[3:4] glc
	s_waitcnt vmcnt(0) lgkmcnt(0)
	ds_bpermute_b32 v1, v7, v1
	v_cndmask_b32_e64 v7, 0, 2, vcc
	v_add_lshl_u32 v7, v7, v5, 2
	v_cmp_ne_u32_e32 vcc, 31, v6
	s_waitcnt lgkmcnt(0)
	v_add_u32_e32 v1, v2, v1
	flat_store_dword v[3:4], v1
	s_waitcnt vmcnt(0)
	flat_load_dword v1, v[3:4] glc
	s_waitcnt vmcnt(0)
	flat_load_dword v2, v[3:4] glc
	s_waitcnt vmcnt(0) lgkmcnt(0)
	ds_bpermute_b32 v1, v7, v1
	s_waitcnt lgkmcnt(0)
	v_add_u32_e32 v1, v2, v1
	flat_store_dword v[3:4], v1
	s_waitcnt vmcnt(0)
	flat_load_dword v1, v[3:4] glc
	s_waitcnt vmcnt(0)
	flat_load_dword v7, v[3:4] glc
	s_waitcnt vmcnt(0)
	v_addc_co_u32_e32 v2, vcc, 0, v5, vcc
	v_lshlrev_b32_e32 v2, 2, v2
	v_cmp_eq_u32_e32 vcc, 0, v0
	s_waitcnt lgkmcnt(0)
	ds_bpermute_b32 v1, v2, v1
	v_mov_b32_e32 v2, -1
	s_waitcnt lgkmcnt(0)
	v_add_u32_e32 v1, v7, v1
	flat_store_dword v[3:4], v1
	s_waitcnt vmcnt(0)
	s_and_saveexec_b64 s[10:11], vcc
	s_cbranch_execz .LBB4_210
; %bb.209:
	v_mov_b32_e32 v1, s4
	v_mov_b32_e32 v2, s5
	flat_load_dword v2, v[1:2] glc
	s_waitcnt vmcnt(0)
.LBB4_210:
	s_or_b64 exec, exec, s[10:11]
.LBB4_211:
	s_cmp_lg_u32 s12, 2
	v_cmp_eq_u32_e32 vcc, 0, v0
	s_cselect_b64 s[4:5], -1, 0
	s_and_b64 s[4:5], s[4:5], vcc
	s_and_saveexec_b64 s[10:11], s[4:5]
	s_cbranch_execz .LBB4_401
; %bb.212:
	s_load_dwordx2 s[8:9], s[8:9], 0x50
	v_mbcnt_lo_u32_b32 v0, -1, 0
	v_mbcnt_hi_u32_b32 v33, -1, v0
	v_readfirstlane_b32 s4, v33
	v_mov_b32_e32 v0, 0
	v_mov_b32_e32 v1, 0
	v_cmp_eq_u32_e64 s[4:5], s4, v33
	s_and_saveexec_b64 s[10:11], s[4:5]
	s_cbranch_execz .LBB4_218
; %bb.213:
	v_mov_b32_e32 v3, 0
	s_waitcnt lgkmcnt(0)
	global_load_dwordx2 v[6:7], v3, s[8:9] offset:24 glc
	s_waitcnt vmcnt(0)
	buffer_wbinvl1_vol
	global_load_dwordx2 v[0:1], v3, s[8:9] offset:40
	global_load_dwordx2 v[4:5], v3, s[8:9]
	s_waitcnt vmcnt(1)
	v_and_b32_e32 v0, v0, v6
	v_and_b32_e32 v1, v1, v7
	v_mul_lo_u32 v1, v1, 24
	v_mul_hi_u32 v8, v0, 24
	v_mul_lo_u32 v0, v0, 24
	v_add_u32_e32 v1, v8, v1
	s_waitcnt vmcnt(0)
	v_add_co_u32_e32 v0, vcc, v4, v0
	v_addc_co_u32_e32 v1, vcc, v5, v1, vcc
	global_load_dwordx2 v[4:5], v[0:1], off glc
	s_waitcnt vmcnt(0)
	global_atomic_cmpswap_x2 v[0:1], v3, v[4:7], s[8:9] offset:24 glc
	s_waitcnt vmcnt(0)
	buffer_wbinvl1_vol
	v_cmp_ne_u64_e32 vcc, v[0:1], v[6:7]
	s_and_saveexec_b64 s[12:13], vcc
	s_cbranch_execz .LBB4_217
; %bb.214:
	s_mov_b64 s[14:15], 0
.LBB4_215:                              ; =>This Inner Loop Header: Depth=1
	s_sleep 1
	global_load_dwordx2 v[4:5], v3, s[8:9] offset:40
	global_load_dwordx2 v[8:9], v3, s[8:9]
	v_mov_b32_e32 v7, v1
	v_mov_b32_e32 v6, v0
	s_waitcnt vmcnt(1)
	v_and_b32_e32 v0, v4, v6
	s_waitcnt vmcnt(0)
	v_mad_u64_u32 v[0:1], s[16:17], v0, 24, v[8:9]
	v_and_b32_e32 v4, v5, v7
	v_mad_u64_u32 v[4:5], s[16:17], v4, 24, v[1:2]
	v_mov_b32_e32 v1, v4
	global_load_dwordx2 v[4:5], v[0:1], off glc
	s_waitcnt vmcnt(0)
	global_atomic_cmpswap_x2 v[0:1], v3, v[4:7], s[8:9] offset:24 glc
	s_waitcnt vmcnt(0)
	buffer_wbinvl1_vol
	v_cmp_eq_u64_e32 vcc, v[0:1], v[6:7]
	s_or_b64 s[14:15], vcc, s[14:15]
	s_andn2_b64 exec, exec, s[14:15]
	s_cbranch_execnz .LBB4_215
; %bb.216:
	s_or_b64 exec, exec, s[14:15]
.LBB4_217:
	s_or_b64 exec, exec, s[12:13]
.LBB4_218:
	s_or_b64 exec, exec, s[10:11]
	v_mov_b32_e32 v7, 0
	s_waitcnt lgkmcnt(0)
	global_load_dwordx2 v[8:9], v7, s[8:9] offset:40
	global_load_dwordx4 v[3:6], v7, s[8:9]
	v_readfirstlane_b32 s11, v1
	v_readfirstlane_b32 s10, v0
	s_mov_b64 s[12:13], exec
	s_waitcnt vmcnt(1)
	v_readfirstlane_b32 s14, v8
	v_readfirstlane_b32 s15, v9
	s_and_b64 s[14:15], s[14:15], s[10:11]
	s_mul_i32 s16, s15, 24
	s_mul_hi_u32 s17, s14, 24
	s_mul_i32 s18, s14, 24
	s_add_i32 s16, s17, s16
	v_mov_b32_e32 v1, s16
	s_waitcnt vmcnt(0)
	v_add_co_u32_e32 v0, vcc, s18, v3
	v_addc_co_u32_e32 v1, vcc, v4, v1, vcc
	s_and_saveexec_b64 s[16:17], s[4:5]
	s_cbranch_execz .LBB4_220
; %bb.219:
	v_mov_b32_e32 v8, s12
	v_mov_b32_e32 v9, s13
	;; [unrolled: 1-line block ×4, first 2 shown]
	global_store_dwordx4 v[0:1], v[8:11], off offset:8
.LBB4_220:
	s_or_b64 exec, exec, s[16:17]
	s_lshl_b64 s[12:13], s[14:15], 12
	v_mov_b32_e32 v8, s13
	v_add_co_u32_e32 v5, vcc, s12, v5
	v_addc_co_u32_e32 v12, vcc, v6, v8, vcc
	v_lshlrev_b32_e32 v32, 6, v33
	s_mov_b32 s12, 0
	v_mov_b32_e32 v6, 33
	v_mov_b32_e32 v8, v7
	;; [unrolled: 1-line block ×3, first 2 shown]
	v_readfirstlane_b32 s16, v5
	v_readfirstlane_b32 s17, v12
	v_add_co_u32_e32 v10, vcc, v5, v32
	s_mov_b32 s13, s12
	s_mov_b32 s14, s12
	;; [unrolled: 1-line block ×3, first 2 shown]
	s_nop 0
	global_store_dwordx4 v32, v[6:9], s[16:17]
	v_mov_b32_e32 v5, s12
	v_addc_co_u32_e32 v11, vcc, 0, v12, vcc
	v_mov_b32_e32 v6, s13
	v_mov_b32_e32 v7, s14
	;; [unrolled: 1-line block ×3, first 2 shown]
	global_store_dwordx4 v32, v[5:8], s[16:17] offset:16
	global_store_dwordx4 v32, v[5:8], s[16:17] offset:32
	;; [unrolled: 1-line block ×3, first 2 shown]
	s_and_saveexec_b64 s[12:13], s[4:5]
	s_cbranch_execz .LBB4_228
; %bb.221:
	v_mov_b32_e32 v9, 0
	global_load_dwordx2 v[14:15], v9, s[8:9] offset:32 glc
	global_load_dwordx2 v[5:6], v9, s[8:9] offset:40
	v_mov_b32_e32 v12, s10
	v_mov_b32_e32 v13, s11
	s_waitcnt vmcnt(0)
	v_and_b32_e32 v5, s10, v5
	v_and_b32_e32 v6, s11, v6
	v_mul_lo_u32 v6, v6, 24
	v_mul_hi_u32 v7, v5, 24
	v_mul_lo_u32 v5, v5, 24
	v_add_u32_e32 v6, v7, v6
	v_add_co_u32_e32 v7, vcc, v3, v5
	v_addc_co_u32_e32 v8, vcc, v4, v6, vcc
	global_store_dwordx2 v[7:8], v[14:15], off
	s_waitcnt vmcnt(0)
	global_atomic_cmpswap_x2 v[5:6], v9, v[12:15], s[8:9] offset:32 glc
	s_waitcnt vmcnt(0)
	v_cmp_ne_u64_e32 vcc, v[5:6], v[14:15]
	s_and_saveexec_b64 s[14:15], vcc
	s_cbranch_execz .LBB4_224
; %bb.222:
	s_mov_b64 s[16:17], 0
.LBB4_223:                              ; =>This Inner Loop Header: Depth=1
	s_sleep 1
	global_store_dwordx2 v[7:8], v[5:6], off
	v_mov_b32_e32 v3, s10
	v_mov_b32_e32 v4, s11
	s_waitcnt vmcnt(0)
	global_atomic_cmpswap_x2 v[3:4], v9, v[3:6], s[8:9] offset:32 glc
	s_waitcnt vmcnt(0)
	v_cmp_eq_u64_e32 vcc, v[3:4], v[5:6]
	v_mov_b32_e32 v6, v4
	s_or_b64 s[16:17], vcc, s[16:17]
	v_mov_b32_e32 v5, v3
	s_andn2_b64 exec, exec, s[16:17]
	s_cbranch_execnz .LBB4_223
.LBB4_224:
	s_or_b64 exec, exec, s[14:15]
	v_mov_b32_e32 v6, 0
	global_load_dwordx2 v[3:4], v6, s[8:9] offset:16
	s_mov_b64 s[14:15], exec
	v_mbcnt_lo_u32_b32 v5, s14, 0
	v_mbcnt_hi_u32_b32 v5, s15, v5
	v_cmp_eq_u32_e32 vcc, 0, v5
	s_and_saveexec_b64 s[16:17], vcc
	s_cbranch_execz .LBB4_226
; %bb.225:
	s_bcnt1_i32_b64 s14, s[14:15]
	v_mov_b32_e32 v5, s14
	s_waitcnt vmcnt(0)
	global_atomic_add_x2 v[3:4], v[5:6], off offset:8
.LBB4_226:
	s_or_b64 exec, exec, s[16:17]
	s_waitcnt vmcnt(0)
	global_load_dwordx2 v[5:6], v[3:4], off offset:16
	s_waitcnt vmcnt(0)
	v_cmp_eq_u64_e32 vcc, 0, v[5:6]
	s_cbranch_vccnz .LBB4_228
; %bb.227:
	global_load_dword v3, v[3:4], off offset:24
	v_mov_b32_e32 v4, 0
	s_waitcnt vmcnt(0)
	v_readfirstlane_b32 s14, v3
	s_and_b32 m0, s14, 0xffffff
	global_store_dwordx2 v[5:6], v[3:4], off
	s_sendmsg sendmsg(MSG_INTERRUPT)
.LBB4_228:
	s_or_b64 exec, exec, s[12:13]
	s_branch .LBB4_232
.LBB4_229:                              ;   in Loop: Header=BB4_232 Depth=1
	s_or_b64 exec, exec, s[12:13]
	v_readfirstlane_b32 s12, v3
	s_cmp_eq_u32 s12, 0
	s_cbranch_scc1 .LBB4_231
; %bb.230:                              ;   in Loop: Header=BB4_232 Depth=1
	s_sleep 1
	s_cbranch_execnz .LBB4_232
	s_branch .LBB4_234
.LBB4_231:
	s_branch .LBB4_234
.LBB4_232:                              ; =>This Inner Loop Header: Depth=1
	v_mov_b32_e32 v3, 1
	s_and_saveexec_b64 s[12:13], s[4:5]
	s_cbranch_execz .LBB4_229
; %bb.233:                              ;   in Loop: Header=BB4_232 Depth=1
	global_load_dword v3, v[0:1], off offset:20 glc
	s_waitcnt vmcnt(0)
	buffer_wbinvl1_vol
	v_and_b32_e32 v3, 1, v3
	s_branch .LBB4_229
.LBB4_234:
	global_load_dwordx2 v[3:4], v[10:11], off
	s_and_saveexec_b64 s[12:13], s[4:5]
	s_cbranch_execz .LBB4_237
; %bb.235:
	v_mov_b32_e32 v9, 0
	global_load_dwordx2 v[0:1], v9, s[8:9] offset:40
	global_load_dwordx2 v[12:13], v9, s[8:9] offset:24 glc
	global_load_dwordx2 v[5:6], v9, s[8:9]
	s_waitcnt vmcnt(2)
	v_readfirstlane_b32 s14, v0
	v_readfirstlane_b32 s15, v1
	s_add_u32 s16, s14, 1
	s_addc_u32 s17, s15, 0
	s_add_u32 s4, s16, s10
	s_addc_u32 s5, s17, s11
	s_cmp_eq_u64 s[4:5], 0
	s_cselect_b32 s5, s17, s5
	s_cselect_b32 s4, s16, s4
	s_and_b64 s[10:11], s[4:5], s[14:15]
	s_mul_i32 s11, s11, 24
	s_mul_hi_u32 s14, s10, 24
	s_mul_i32 s10, s10, 24
	s_add_i32 s11, s14, s11
	v_mov_b32_e32 v1, s11
	s_waitcnt vmcnt(0)
	v_add_co_u32_e32 v0, vcc, s10, v5
	v_addc_co_u32_e32 v1, vcc, v6, v1, vcc
	v_mov_b32_e32 v10, s4
	global_store_dwordx2 v[0:1], v[12:13], off
	v_mov_b32_e32 v11, s5
	s_waitcnt vmcnt(0)
	global_atomic_cmpswap_x2 v[7:8], v9, v[10:13], s[8:9] offset:24 glc
	s_mov_b64 s[10:11], 0
	s_waitcnt vmcnt(0)
	v_cmp_ne_u64_e32 vcc, v[7:8], v[12:13]
	s_and_b64 exec, exec, vcc
	s_cbranch_execz .LBB4_237
.LBB4_236:                              ; =>This Inner Loop Header: Depth=1
	s_sleep 1
	global_store_dwordx2 v[0:1], v[7:8], off
	v_mov_b32_e32 v5, s4
	v_mov_b32_e32 v6, s5
	s_waitcnt vmcnt(0)
	global_atomic_cmpswap_x2 v[5:6], v9, v[5:8], s[8:9] offset:24 glc
	s_waitcnt vmcnt(0)
	v_cmp_eq_u64_e32 vcc, v[5:6], v[7:8]
	v_mov_b32_e32 v8, v6
	s_or_b64 s[10:11], vcc, s[10:11]
	v_mov_b32_e32 v7, v5
	s_andn2_b64 exec, exec, s[10:11]
	s_cbranch_execnz .LBB4_236
.LBB4_237:
	s_or_b64 exec, exec, s[12:13]
	s_getpc_b64 s[10:11]
	s_add_u32 s10, s10, .str.1@rel32@lo+4
	s_addc_u32 s11, s11, .str.1@rel32@hi+12
	s_cmp_lg_u64 s[10:11], 0
	s_cbranch_scc0 .LBB4_323
; %bb.238:
	s_waitcnt vmcnt(0)
	v_and_b32_e32 v34, 2, v3
	v_mov_b32_e32 v1, 0
	v_and_b32_e32 v5, -3, v3
	v_mov_b32_e32 v6, v4
	s_mov_b64 s[12:13], 58
	v_mov_b32_e32 v11, 2
	v_mov_b32_e32 v12, 1
	s_branch .LBB4_240
.LBB4_239:                              ;   in Loop: Header=BB4_240 Depth=1
	s_or_b64 exec, exec, s[18:19]
	s_sub_u32 s12, s12, s14
	s_subb_u32 s13, s13, s15
	s_add_u32 s10, s10, s14
	s_addc_u32 s11, s11, s15
	s_cmp_lg_u64 s[12:13], 0
	s_cbranch_scc0 .LBB4_322
.LBB4_240:                              ; =>This Loop Header: Depth=1
                                        ;     Child Loop BB4_243 Depth 2
                                        ;     Child Loop BB4_251 Depth 2
	;; [unrolled: 1-line block ×11, first 2 shown]
	v_cmp_lt_u64_e64 s[4:5], s[12:13], 56
	v_cmp_gt_u64_e64 s[16:17], s[12:13], 7
	s_and_b64 s[4:5], s[4:5], exec
	s_cselect_b32 s15, s13, 0
	s_cselect_b32 s14, s12, 56
	s_add_u32 s4, s10, 8
	s_addc_u32 s5, s11, 0
	s_and_b64 vcc, exec, s[16:17]
	s_cbranch_vccnz .LBB4_244
; %bb.241:                              ;   in Loop: Header=BB4_240 Depth=1
	s_cmp_eq_u64 s[12:13], 0
	s_cbranch_scc1 .LBB4_245
; %bb.242:                              ;   in Loop: Header=BB4_240 Depth=1
	v_mov_b32_e32 v7, 0
	s_lshl_b64 s[4:5], s[14:15], 3
	s_mov_b64 s[16:17], 0
	v_mov_b32_e32 v8, 0
	s_mov_b64 s[18:19], s[10:11]
.LBB4_243:                              ;   Parent Loop BB4_240 Depth=1
                                        ; =>  This Inner Loop Header: Depth=2
	global_load_ubyte v0, v1, s[18:19]
	s_waitcnt vmcnt(0)
	v_and_b32_e32 v0, 0xffff, v0
	v_lshlrev_b64 v[9:10], s16, v[0:1]
	s_add_u32 s16, s16, 8
	s_addc_u32 s17, s17, 0
	s_add_u32 s18, s18, 1
	s_addc_u32 s19, s19, 0
	v_or_b32_e32 v7, v9, v7
	s_cmp_lg_u32 s4, s16
	v_or_b32_e32 v8, v10, v8
	s_cbranch_scc1 .LBB4_243
	s_branch .LBB4_246
.LBB4_244:                              ;   in Loop: Header=BB4_240 Depth=1
	s_mov_b32 s20, 0
	s_branch .LBB4_247
.LBB4_245:                              ;   in Loop: Header=BB4_240 Depth=1
	v_mov_b32_e32 v7, 0
	v_mov_b32_e32 v8, 0
.LBB4_246:                              ;   in Loop: Header=BB4_240 Depth=1
	s_mov_b64 s[4:5], s[10:11]
	s_mov_b32 s20, 0
	s_cbranch_execnz .LBB4_248
.LBB4_247:                              ;   in Loop: Header=BB4_240 Depth=1
	global_load_dwordx2 v[7:8], v1, s[10:11]
	s_add_i32 s20, s14, -8
.LBB4_248:                              ;   in Loop: Header=BB4_240 Depth=1
	s_add_u32 s16, s4, 8
	s_addc_u32 s17, s5, 0
	s_cmp_gt_u32 s20, 7
	s_cbranch_scc1 .LBB4_252
; %bb.249:                              ;   in Loop: Header=BB4_240 Depth=1
	s_cmp_eq_u32 s20, 0
	s_cbranch_scc1 .LBB4_253
; %bb.250:                              ;   in Loop: Header=BB4_240 Depth=1
	v_mov_b32_e32 v13, 0
	s_mov_b64 s[16:17], 0
	v_mov_b32_e32 v14, 0
	s_mov_b64 s[18:19], 0
.LBB4_251:                              ;   Parent Loop BB4_240 Depth=1
                                        ; =>  This Inner Loop Header: Depth=2
	s_add_u32 s22, s4, s18
	s_addc_u32 s23, s5, s19
	global_load_ubyte v0, v1, s[22:23]
	s_add_u32 s18, s18, 1
	s_addc_u32 s19, s19, 0
	s_waitcnt vmcnt(0)
	v_and_b32_e32 v0, 0xffff, v0
	v_lshlrev_b64 v[9:10], s16, v[0:1]
	s_add_u32 s16, s16, 8
	s_addc_u32 s17, s17, 0
	v_or_b32_e32 v13, v9, v13
	s_cmp_lg_u32 s20, s18
	v_or_b32_e32 v14, v10, v14
	s_cbranch_scc1 .LBB4_251
	s_branch .LBB4_254
.LBB4_252:                              ;   in Loop: Header=BB4_240 Depth=1
                                        ; implicit-def: $vgpr13_vgpr14
	s_mov_b32 s21, 0
	s_branch .LBB4_255
.LBB4_253:                              ;   in Loop: Header=BB4_240 Depth=1
	v_mov_b32_e32 v13, 0
	v_mov_b32_e32 v14, 0
.LBB4_254:                              ;   in Loop: Header=BB4_240 Depth=1
	s_mov_b64 s[16:17], s[4:5]
	s_mov_b32 s21, 0
	s_cbranch_execnz .LBB4_256
.LBB4_255:                              ;   in Loop: Header=BB4_240 Depth=1
	global_load_dwordx2 v[13:14], v1, s[4:5]
	s_add_i32 s21, s20, -8
.LBB4_256:                              ;   in Loop: Header=BB4_240 Depth=1
	s_add_u32 s4, s16, 8
	s_addc_u32 s5, s17, 0
	s_cmp_gt_u32 s21, 7
	s_cbranch_scc1 .LBB4_260
; %bb.257:                              ;   in Loop: Header=BB4_240 Depth=1
	s_cmp_eq_u32 s21, 0
	s_cbranch_scc1 .LBB4_261
; %bb.258:                              ;   in Loop: Header=BB4_240 Depth=1
	v_mov_b32_e32 v15, 0
	s_mov_b64 s[4:5], 0
	v_mov_b32_e32 v16, 0
	s_mov_b64 s[18:19], 0
.LBB4_259:                              ;   Parent Loop BB4_240 Depth=1
                                        ; =>  This Inner Loop Header: Depth=2
	s_add_u32 s22, s16, s18
	s_addc_u32 s23, s17, s19
	global_load_ubyte v0, v1, s[22:23]
	s_add_u32 s18, s18, 1
	s_addc_u32 s19, s19, 0
	s_waitcnt vmcnt(0)
	v_and_b32_e32 v0, 0xffff, v0
	v_lshlrev_b64 v[9:10], s4, v[0:1]
	s_add_u32 s4, s4, 8
	s_addc_u32 s5, s5, 0
	v_or_b32_e32 v15, v9, v15
	s_cmp_lg_u32 s21, s18
	v_or_b32_e32 v16, v10, v16
	s_cbranch_scc1 .LBB4_259
	s_branch .LBB4_262
.LBB4_260:                              ;   in Loop: Header=BB4_240 Depth=1
	s_mov_b32 s20, 0
	s_branch .LBB4_263
.LBB4_261:                              ;   in Loop: Header=BB4_240 Depth=1
	v_mov_b32_e32 v15, 0
	v_mov_b32_e32 v16, 0
.LBB4_262:                              ;   in Loop: Header=BB4_240 Depth=1
	s_mov_b64 s[4:5], s[16:17]
	s_mov_b32 s20, 0
	s_cbranch_execnz .LBB4_264
.LBB4_263:                              ;   in Loop: Header=BB4_240 Depth=1
	global_load_dwordx2 v[15:16], v1, s[16:17]
	s_add_i32 s20, s21, -8
.LBB4_264:                              ;   in Loop: Header=BB4_240 Depth=1
	s_add_u32 s16, s4, 8
	s_addc_u32 s17, s5, 0
	s_cmp_gt_u32 s20, 7
	s_cbranch_scc1 .LBB4_268
; %bb.265:                              ;   in Loop: Header=BB4_240 Depth=1
	s_cmp_eq_u32 s20, 0
	s_cbranch_scc1 .LBB4_269
; %bb.266:                              ;   in Loop: Header=BB4_240 Depth=1
	v_mov_b32_e32 v17, 0
	s_mov_b64 s[16:17], 0
	v_mov_b32_e32 v18, 0
	s_mov_b64 s[18:19], 0
.LBB4_267:                              ;   Parent Loop BB4_240 Depth=1
                                        ; =>  This Inner Loop Header: Depth=2
	s_add_u32 s22, s4, s18
	s_addc_u32 s23, s5, s19
	global_load_ubyte v0, v1, s[22:23]
	s_add_u32 s18, s18, 1
	s_addc_u32 s19, s19, 0
	s_waitcnt vmcnt(0)
	v_and_b32_e32 v0, 0xffff, v0
	v_lshlrev_b64 v[9:10], s16, v[0:1]
	s_add_u32 s16, s16, 8
	s_addc_u32 s17, s17, 0
	v_or_b32_e32 v17, v9, v17
	s_cmp_lg_u32 s20, s18
	v_or_b32_e32 v18, v10, v18
	s_cbranch_scc1 .LBB4_267
	s_branch .LBB4_270
.LBB4_268:                              ;   in Loop: Header=BB4_240 Depth=1
                                        ; implicit-def: $vgpr17_vgpr18
	s_mov_b32 s21, 0
	s_branch .LBB4_271
.LBB4_269:                              ;   in Loop: Header=BB4_240 Depth=1
	v_mov_b32_e32 v17, 0
	v_mov_b32_e32 v18, 0
.LBB4_270:                              ;   in Loop: Header=BB4_240 Depth=1
	s_mov_b64 s[16:17], s[4:5]
	s_mov_b32 s21, 0
	s_cbranch_execnz .LBB4_272
.LBB4_271:                              ;   in Loop: Header=BB4_240 Depth=1
	global_load_dwordx2 v[17:18], v1, s[4:5]
	s_add_i32 s21, s20, -8
.LBB4_272:                              ;   in Loop: Header=BB4_240 Depth=1
	s_add_u32 s4, s16, 8
	s_addc_u32 s5, s17, 0
	s_cmp_gt_u32 s21, 7
	s_cbranch_scc1 .LBB4_276
; %bb.273:                              ;   in Loop: Header=BB4_240 Depth=1
	s_cmp_eq_u32 s21, 0
	s_cbranch_scc1 .LBB4_277
; %bb.274:                              ;   in Loop: Header=BB4_240 Depth=1
	v_mov_b32_e32 v19, 0
	s_mov_b64 s[4:5], 0
	v_mov_b32_e32 v20, 0
	s_mov_b64 s[18:19], 0
.LBB4_275:                              ;   Parent Loop BB4_240 Depth=1
                                        ; =>  This Inner Loop Header: Depth=2
	s_add_u32 s22, s16, s18
	s_addc_u32 s23, s17, s19
	global_load_ubyte v0, v1, s[22:23]
	s_add_u32 s18, s18, 1
	s_addc_u32 s19, s19, 0
	s_waitcnt vmcnt(0)
	v_and_b32_e32 v0, 0xffff, v0
	v_lshlrev_b64 v[9:10], s4, v[0:1]
	s_add_u32 s4, s4, 8
	s_addc_u32 s5, s5, 0
	v_or_b32_e32 v19, v9, v19
	s_cmp_lg_u32 s21, s18
	v_or_b32_e32 v20, v10, v20
	s_cbranch_scc1 .LBB4_275
	s_branch .LBB4_278
.LBB4_276:                              ;   in Loop: Header=BB4_240 Depth=1
	s_mov_b32 s20, 0
	s_branch .LBB4_279
.LBB4_277:                              ;   in Loop: Header=BB4_240 Depth=1
	v_mov_b32_e32 v19, 0
	v_mov_b32_e32 v20, 0
.LBB4_278:                              ;   in Loop: Header=BB4_240 Depth=1
	s_mov_b64 s[4:5], s[16:17]
	s_mov_b32 s20, 0
	s_cbranch_execnz .LBB4_280
.LBB4_279:                              ;   in Loop: Header=BB4_240 Depth=1
	global_load_dwordx2 v[19:20], v1, s[16:17]
	s_add_i32 s20, s21, -8
.LBB4_280:                              ;   in Loop: Header=BB4_240 Depth=1
	s_add_u32 s16, s4, 8
	s_addc_u32 s17, s5, 0
	s_cmp_gt_u32 s20, 7
	s_cbranch_scc1 .LBB4_284
; %bb.281:                              ;   in Loop: Header=BB4_240 Depth=1
	s_cmp_eq_u32 s20, 0
	s_cbranch_scc1 .LBB4_285
; %bb.282:                              ;   in Loop: Header=BB4_240 Depth=1
	v_mov_b32_e32 v21, 0
	s_mov_b64 s[16:17], 0
	v_mov_b32_e32 v22, 0
	s_mov_b64 s[18:19], 0
.LBB4_283:                              ;   Parent Loop BB4_240 Depth=1
                                        ; =>  This Inner Loop Header: Depth=2
	s_add_u32 s22, s4, s18
	s_addc_u32 s23, s5, s19
	global_load_ubyte v0, v1, s[22:23]
	s_add_u32 s18, s18, 1
	s_addc_u32 s19, s19, 0
	s_waitcnt vmcnt(0)
	v_and_b32_e32 v0, 0xffff, v0
	v_lshlrev_b64 v[9:10], s16, v[0:1]
	s_add_u32 s16, s16, 8
	s_addc_u32 s17, s17, 0
	v_or_b32_e32 v21, v9, v21
	s_cmp_lg_u32 s20, s18
	v_or_b32_e32 v22, v10, v22
	s_cbranch_scc1 .LBB4_283
	s_branch .LBB4_286
.LBB4_284:                              ;   in Loop: Header=BB4_240 Depth=1
                                        ; implicit-def: $vgpr21_vgpr22
	s_mov_b32 s21, 0
	s_branch .LBB4_287
.LBB4_285:                              ;   in Loop: Header=BB4_240 Depth=1
	v_mov_b32_e32 v21, 0
	v_mov_b32_e32 v22, 0
.LBB4_286:                              ;   in Loop: Header=BB4_240 Depth=1
	s_mov_b64 s[16:17], s[4:5]
	s_mov_b32 s21, 0
	s_cbranch_execnz .LBB4_288
.LBB4_287:                              ;   in Loop: Header=BB4_240 Depth=1
	global_load_dwordx2 v[21:22], v1, s[4:5]
	s_add_i32 s21, s20, -8
.LBB4_288:                              ;   in Loop: Header=BB4_240 Depth=1
	s_cmp_gt_u32 s21, 7
	s_cbranch_scc1 .LBB4_292
; %bb.289:                              ;   in Loop: Header=BB4_240 Depth=1
	s_cmp_eq_u32 s21, 0
	s_cbranch_scc1 .LBB4_293
; %bb.290:                              ;   in Loop: Header=BB4_240 Depth=1
	v_mov_b32_e32 v23, 0
	s_mov_b64 s[4:5], 0
	v_mov_b32_e32 v24, 0
	s_mov_b64 s[18:19], s[16:17]
.LBB4_291:                              ;   Parent Loop BB4_240 Depth=1
                                        ; =>  This Inner Loop Header: Depth=2
	global_load_ubyte v0, v1, s[18:19]
	s_add_i32 s21, s21, -1
	s_waitcnt vmcnt(0)
	v_and_b32_e32 v0, 0xffff, v0
	v_lshlrev_b64 v[9:10], s4, v[0:1]
	s_add_u32 s4, s4, 8
	s_addc_u32 s5, s5, 0
	s_add_u32 s18, s18, 1
	s_addc_u32 s19, s19, 0
	v_or_b32_e32 v23, v9, v23
	s_cmp_lg_u32 s21, 0
	v_or_b32_e32 v24, v10, v24
	s_cbranch_scc1 .LBB4_291
	s_branch .LBB4_294
.LBB4_292:                              ;   in Loop: Header=BB4_240 Depth=1
	s_branch .LBB4_295
.LBB4_293:                              ;   in Loop: Header=BB4_240 Depth=1
	v_mov_b32_e32 v23, 0
	v_mov_b32_e32 v24, 0
.LBB4_294:                              ;   in Loop: Header=BB4_240 Depth=1
	s_cbranch_execnz .LBB4_296
.LBB4_295:                              ;   in Loop: Header=BB4_240 Depth=1
	global_load_dwordx2 v[23:24], v1, s[16:17]
.LBB4_296:                              ;   in Loop: Header=BB4_240 Depth=1
	v_readfirstlane_b32 s4, v33
	v_mov_b32_e32 v9, 0
	v_mov_b32_e32 v10, 0
	v_cmp_eq_u32_e64 s[4:5], s4, v33
	s_and_saveexec_b64 s[16:17], s[4:5]
	s_cbranch_execz .LBB4_302
; %bb.297:                              ;   in Loop: Header=BB4_240 Depth=1
	global_load_dwordx2 v[27:28], v1, s[8:9] offset:24 glc
	s_waitcnt vmcnt(0)
	buffer_wbinvl1_vol
	global_load_dwordx2 v[9:10], v1, s[8:9] offset:40
	global_load_dwordx2 v[25:26], v1, s[8:9]
	s_waitcnt vmcnt(1)
	v_and_b32_e32 v0, v9, v27
	v_and_b32_e32 v9, v10, v28
	v_mul_lo_u32 v9, v9, 24
	v_mul_hi_u32 v10, v0, 24
	v_mul_lo_u32 v0, v0, 24
	v_add_u32_e32 v10, v10, v9
	s_waitcnt vmcnt(0)
	v_add_co_u32_e32 v9, vcc, v25, v0
	v_addc_co_u32_e32 v10, vcc, v26, v10, vcc
	global_load_dwordx2 v[25:26], v[9:10], off glc
	s_waitcnt vmcnt(0)
	global_atomic_cmpswap_x2 v[9:10], v1, v[25:28], s[8:9] offset:24 glc
	s_waitcnt vmcnt(0)
	buffer_wbinvl1_vol
	v_cmp_ne_u64_e32 vcc, v[9:10], v[27:28]
	s_and_saveexec_b64 s[18:19], vcc
	s_cbranch_execz .LBB4_301
; %bb.298:                              ;   in Loop: Header=BB4_240 Depth=1
	s_mov_b64 s[20:21], 0
.LBB4_299:                              ;   Parent Loop BB4_240 Depth=1
                                        ; =>  This Inner Loop Header: Depth=2
	s_sleep 1
	global_load_dwordx2 v[25:26], v1, s[8:9] offset:40
	global_load_dwordx2 v[30:31], v1, s[8:9]
	v_mov_b32_e32 v28, v10
	v_mov_b32_e32 v27, v9
	s_waitcnt vmcnt(1)
	v_and_b32_e32 v0, v25, v27
	s_waitcnt vmcnt(0)
	v_mad_u64_u32 v[9:10], s[22:23], v0, 24, v[30:31]
	v_and_b32_e32 v25, v26, v28
	v_mov_b32_e32 v0, v10
	v_mad_u64_u32 v[25:26], s[22:23], v25, 24, v[0:1]
	v_mov_b32_e32 v10, v25
	global_load_dwordx2 v[25:26], v[9:10], off glc
	s_waitcnt vmcnt(0)
	global_atomic_cmpswap_x2 v[9:10], v1, v[25:28], s[8:9] offset:24 glc
	s_waitcnt vmcnt(0)
	buffer_wbinvl1_vol
	v_cmp_eq_u64_e32 vcc, v[9:10], v[27:28]
	s_or_b64 s[20:21], vcc, s[20:21]
	s_andn2_b64 exec, exec, s[20:21]
	s_cbranch_execnz .LBB4_299
; %bb.300:                              ;   in Loop: Header=BB4_240 Depth=1
	s_or_b64 exec, exec, s[20:21]
.LBB4_301:                              ;   in Loop: Header=BB4_240 Depth=1
	s_or_b64 exec, exec, s[18:19]
.LBB4_302:                              ;   in Loop: Header=BB4_240 Depth=1
	s_or_b64 exec, exec, s[16:17]
	global_load_dwordx2 v[30:31], v1, s[8:9] offset:40
	global_load_dwordx4 v[25:28], v1, s[8:9]
	v_readfirstlane_b32 s17, v10
	v_readfirstlane_b32 s16, v9
	s_mov_b64 s[18:19], exec
	s_waitcnt vmcnt(1)
	v_readfirstlane_b32 s20, v30
	v_readfirstlane_b32 s21, v31
	s_and_b64 s[20:21], s[20:21], s[16:17]
	s_mul_i32 s22, s21, 24
	s_mul_hi_u32 s23, s20, 24
	s_mul_i32 s24, s20, 24
	s_add_i32 s22, s23, s22
	v_mov_b32_e32 v0, s22
	s_waitcnt vmcnt(0)
	v_add_co_u32_e32 v30, vcc, s24, v25
	v_addc_co_u32_e32 v31, vcc, v26, v0, vcc
	s_and_saveexec_b64 s[22:23], s[4:5]
	s_cbranch_execz .LBB4_304
; %bb.303:                              ;   in Loop: Header=BB4_240 Depth=1
	v_mov_b32_e32 v9, s18
	v_mov_b32_e32 v10, s19
	global_store_dwordx4 v[30:31], v[9:12], off offset:8
.LBB4_304:                              ;   in Loop: Header=BB4_240 Depth=1
	s_or_b64 exec, exec, s[22:23]
	s_lshl_b64 s[18:19], s[20:21], 12
	v_mov_b32_e32 v0, s19
	v_add_co_u32_e32 v27, vcc, s18, v27
	v_addc_co_u32_e32 v28, vcc, v28, v0, vcc
	v_cmp_lt_u64_e64 vcc, s[12:13], 57
	s_lshl_b32 s18, s14, 2
	v_cndmask_b32_e32 v0, 0, v34, vcc
	s_add_i32 s18, s18, 28
	v_and_b32_e32 v5, 0xffffff1f, v5
	s_and_b32 s18, s18, 0x1e0
	v_or_b32_e32 v0, v5, v0
	v_or_b32_e32 v5, s18, v0
	v_readfirstlane_b32 s18, v27
	v_readfirstlane_b32 s19, v28
	s_nop 4
	global_store_dwordx4 v32, v[5:8], s[18:19]
	global_store_dwordx4 v32, v[13:16], s[18:19] offset:16
	global_store_dwordx4 v32, v[17:20], s[18:19] offset:32
	;; [unrolled: 1-line block ×3, first 2 shown]
	s_and_saveexec_b64 s[18:19], s[4:5]
	s_cbranch_execz .LBB4_312
; %bb.305:                              ;   in Loop: Header=BB4_240 Depth=1
	global_load_dwordx2 v[15:16], v1, s[8:9] offset:32 glc
	global_load_dwordx2 v[5:6], v1, s[8:9] offset:40
	v_mov_b32_e32 v13, s16
	v_mov_b32_e32 v14, s17
	s_waitcnt vmcnt(0)
	v_readfirstlane_b32 s20, v5
	v_readfirstlane_b32 s21, v6
	s_and_b64 s[20:21], s[20:21], s[16:17]
	s_mul_i32 s21, s21, 24
	s_mul_hi_u32 s22, s20, 24
	s_mul_i32 s20, s20, 24
	s_add_i32 s21, s22, s21
	v_mov_b32_e32 v0, s21
	v_add_co_u32_e32 v9, vcc, s20, v25
	v_addc_co_u32_e32 v10, vcc, v26, v0, vcc
	global_store_dwordx2 v[9:10], v[15:16], off
	s_waitcnt vmcnt(0)
	global_atomic_cmpswap_x2 v[7:8], v1, v[13:16], s[8:9] offset:32 glc
	s_waitcnt vmcnt(0)
	v_cmp_ne_u64_e32 vcc, v[7:8], v[15:16]
	s_and_saveexec_b64 s[20:21], vcc
	s_cbranch_execz .LBB4_308
; %bb.306:                              ;   in Loop: Header=BB4_240 Depth=1
	s_mov_b64 s[22:23], 0
.LBB4_307:                              ;   Parent Loop BB4_240 Depth=1
                                        ; =>  This Inner Loop Header: Depth=2
	s_sleep 1
	global_store_dwordx2 v[9:10], v[7:8], off
	v_mov_b32_e32 v5, s16
	v_mov_b32_e32 v6, s17
	s_waitcnt vmcnt(0)
	global_atomic_cmpswap_x2 v[5:6], v1, v[5:8], s[8:9] offset:32 glc
	s_waitcnt vmcnt(0)
	v_cmp_eq_u64_e32 vcc, v[5:6], v[7:8]
	v_mov_b32_e32 v8, v6
	s_or_b64 s[22:23], vcc, s[22:23]
	v_mov_b32_e32 v7, v5
	s_andn2_b64 exec, exec, s[22:23]
	s_cbranch_execnz .LBB4_307
.LBB4_308:                              ;   in Loop: Header=BB4_240 Depth=1
	s_or_b64 exec, exec, s[20:21]
	global_load_dwordx2 v[5:6], v1, s[8:9] offset:16
	s_mov_b64 s[22:23], exec
	v_mbcnt_lo_u32_b32 v0, s22, 0
	v_mbcnt_hi_u32_b32 v0, s23, v0
	v_cmp_eq_u32_e32 vcc, 0, v0
	s_and_saveexec_b64 s[20:21], vcc
	s_cbranch_execz .LBB4_310
; %bb.309:                              ;   in Loop: Header=BB4_240 Depth=1
	s_bcnt1_i32_b64 s22, s[22:23]
	v_mov_b32_e32 v0, s22
	s_waitcnt vmcnt(0)
	global_atomic_add_x2 v[5:6], v[0:1], off offset:8
.LBB4_310:                              ;   in Loop: Header=BB4_240 Depth=1
	s_or_b64 exec, exec, s[20:21]
	s_waitcnt vmcnt(0)
	global_load_dwordx2 v[7:8], v[5:6], off offset:16
	s_waitcnt vmcnt(0)
	v_cmp_eq_u64_e32 vcc, 0, v[7:8]
	s_cbranch_vccnz .LBB4_312
; %bb.311:                              ;   in Loop: Header=BB4_240 Depth=1
	global_load_dword v0, v[5:6], off offset:24
	s_waitcnt vmcnt(0)
	v_readfirstlane_b32 s20, v0
	s_and_b32 m0, s20, 0xffffff
	global_store_dwordx2 v[7:8], v[0:1], off
	s_sendmsg sendmsg(MSG_INTERRUPT)
.LBB4_312:                              ;   in Loop: Header=BB4_240 Depth=1
	s_or_b64 exec, exec, s[18:19]
	v_add_co_u32_e32 v5, vcc, v27, v32
	v_addc_co_u32_e32 v6, vcc, 0, v28, vcc
	s_branch .LBB4_316
.LBB4_313:                              ;   in Loop: Header=BB4_316 Depth=2
	s_or_b64 exec, exec, s[18:19]
	v_readfirstlane_b32 s18, v0
	s_cmp_eq_u32 s18, 0
	s_cbranch_scc1 .LBB4_315
; %bb.314:                              ;   in Loop: Header=BB4_316 Depth=2
	s_sleep 1
	s_cbranch_execnz .LBB4_316
	s_branch .LBB4_318
.LBB4_315:                              ;   in Loop: Header=BB4_240 Depth=1
	s_branch .LBB4_318
.LBB4_316:                              ;   Parent Loop BB4_240 Depth=1
                                        ; =>  This Inner Loop Header: Depth=2
	v_mov_b32_e32 v0, 1
	s_and_saveexec_b64 s[18:19], s[4:5]
	s_cbranch_execz .LBB4_313
; %bb.317:                              ;   in Loop: Header=BB4_316 Depth=2
	global_load_dword v0, v[30:31], off offset:20 glc
	s_waitcnt vmcnt(0)
	buffer_wbinvl1_vol
	v_and_b32_e32 v0, 1, v0
	s_branch .LBB4_313
.LBB4_318:                              ;   in Loop: Header=BB4_240 Depth=1
	global_load_dwordx2 v[5:6], v[5:6], off
	s_and_saveexec_b64 s[18:19], s[4:5]
	s_cbranch_execz .LBB4_239
; %bb.319:                              ;   in Loop: Header=BB4_240 Depth=1
	global_load_dwordx2 v[7:8], v1, s[8:9] offset:40
	global_load_dwordx2 v[17:18], v1, s[8:9] offset:24 glc
	global_load_dwordx2 v[9:10], v1, s[8:9]
	s_waitcnt vmcnt(2)
	v_readfirstlane_b32 s20, v7
	v_readfirstlane_b32 s21, v8
	s_add_u32 s22, s20, 1
	s_addc_u32 s23, s21, 0
	s_add_u32 s4, s22, s16
	s_addc_u32 s5, s23, s17
	s_cmp_eq_u64 s[4:5], 0
	s_cselect_b32 s5, s23, s5
	s_cselect_b32 s4, s22, s4
	s_and_b64 s[16:17], s[4:5], s[20:21]
	s_mul_i32 s17, s17, 24
	s_mul_hi_u32 s20, s16, 24
	s_mul_i32 s16, s16, 24
	s_add_i32 s17, s20, s17
	v_mov_b32_e32 v0, s17
	s_waitcnt vmcnt(0)
	v_add_co_u32_e32 v13, vcc, s16, v9
	v_addc_co_u32_e32 v14, vcc, v10, v0, vcc
	v_mov_b32_e32 v15, s4
	global_store_dwordx2 v[13:14], v[17:18], off
	v_mov_b32_e32 v16, s5
	s_waitcnt vmcnt(0)
	global_atomic_cmpswap_x2 v[9:10], v1, v[15:18], s[8:9] offset:24 glc
	s_waitcnt vmcnt(0)
	v_cmp_ne_u64_e32 vcc, v[9:10], v[17:18]
	s_and_b64 exec, exec, vcc
	s_cbranch_execz .LBB4_239
; %bb.320:                              ;   in Loop: Header=BB4_240 Depth=1
	s_mov_b64 s[16:17], 0
.LBB4_321:                              ;   Parent Loop BB4_240 Depth=1
                                        ; =>  This Inner Loop Header: Depth=2
	s_sleep 1
	global_store_dwordx2 v[13:14], v[9:10], off
	v_mov_b32_e32 v7, s4
	v_mov_b32_e32 v8, s5
	s_waitcnt vmcnt(0)
	global_atomic_cmpswap_x2 v[7:8], v1, v[7:10], s[8:9] offset:24 glc
	s_waitcnt vmcnt(0)
	v_cmp_eq_u64_e32 vcc, v[7:8], v[9:10]
	v_mov_b32_e32 v10, v8
	s_or_b64 s[16:17], vcc, s[16:17]
	v_mov_b32_e32 v9, v7
	s_andn2_b64 exec, exec, s[16:17]
	s_cbranch_execnz .LBB4_321
	s_branch .LBB4_239
.LBB4_322:
	s_branch .LBB4_350
.LBB4_323:
                                        ; implicit-def: $vgpr5_vgpr6
	s_cbranch_execz .LBB4_350
; %bb.324:
	v_readfirstlane_b32 s4, v33
	v_mov_b32_e32 v0, 0
	v_mov_b32_e32 v1, 0
	v_cmp_eq_u32_e64 s[4:5], s4, v33
	s_and_saveexec_b64 s[10:11], s[4:5]
	s_cbranch_execz .LBB4_330
; %bb.325:
	s_waitcnt vmcnt(0)
	v_mov_b32_e32 v5, 0
	global_load_dwordx2 v[8:9], v5, s[8:9] offset:24 glc
	s_waitcnt vmcnt(0)
	buffer_wbinvl1_vol
	global_load_dwordx2 v[0:1], v5, s[8:9] offset:40
	global_load_dwordx2 v[6:7], v5, s[8:9]
	s_waitcnt vmcnt(1)
	v_and_b32_e32 v0, v0, v8
	v_and_b32_e32 v1, v1, v9
	v_mul_lo_u32 v1, v1, 24
	v_mul_hi_u32 v10, v0, 24
	v_mul_lo_u32 v0, v0, 24
	v_add_u32_e32 v1, v10, v1
	s_waitcnt vmcnt(0)
	v_add_co_u32_e32 v0, vcc, v6, v0
	v_addc_co_u32_e32 v1, vcc, v7, v1, vcc
	global_load_dwordx2 v[6:7], v[0:1], off glc
	s_waitcnt vmcnt(0)
	global_atomic_cmpswap_x2 v[0:1], v5, v[6:9], s[8:9] offset:24 glc
	s_waitcnt vmcnt(0)
	buffer_wbinvl1_vol
	v_cmp_ne_u64_e32 vcc, v[0:1], v[8:9]
	s_and_saveexec_b64 s[12:13], vcc
	s_cbranch_execz .LBB4_329
; %bb.326:
	s_mov_b64 s[14:15], 0
.LBB4_327:                              ; =>This Inner Loop Header: Depth=1
	s_sleep 1
	global_load_dwordx2 v[6:7], v5, s[8:9] offset:40
	global_load_dwordx2 v[10:11], v5, s[8:9]
	v_mov_b32_e32 v9, v1
	v_mov_b32_e32 v8, v0
	s_waitcnt vmcnt(1)
	v_and_b32_e32 v0, v6, v8
	s_waitcnt vmcnt(0)
	v_mad_u64_u32 v[0:1], s[16:17], v0, 24, v[10:11]
	v_and_b32_e32 v6, v7, v9
	v_mad_u64_u32 v[6:7], s[16:17], v6, 24, v[1:2]
	v_mov_b32_e32 v1, v6
	global_load_dwordx2 v[6:7], v[0:1], off glc
	s_waitcnt vmcnt(0)
	global_atomic_cmpswap_x2 v[0:1], v5, v[6:9], s[8:9] offset:24 glc
	s_waitcnt vmcnt(0)
	buffer_wbinvl1_vol
	v_cmp_eq_u64_e32 vcc, v[0:1], v[8:9]
	s_or_b64 s[14:15], vcc, s[14:15]
	s_andn2_b64 exec, exec, s[14:15]
	s_cbranch_execnz .LBB4_327
; %bb.328:
	s_or_b64 exec, exec, s[14:15]
.LBB4_329:
	s_or_b64 exec, exec, s[12:13]
.LBB4_330:
	s_or_b64 exec, exec, s[10:11]
	s_waitcnt vmcnt(0)
	v_mov_b32_e32 v5, 0
	global_load_dwordx2 v[11:12], v5, s[8:9] offset:40
	global_load_dwordx4 v[7:10], v5, s[8:9]
	v_readfirstlane_b32 s11, v1
	v_readfirstlane_b32 s10, v0
	s_mov_b64 s[12:13], exec
	s_waitcnt vmcnt(1)
	v_readfirstlane_b32 s14, v11
	v_readfirstlane_b32 s15, v12
	s_and_b64 s[14:15], s[14:15], s[10:11]
	s_mul_i32 s16, s15, 24
	s_mul_hi_u32 s17, s14, 24
	s_mul_i32 s18, s14, 24
	s_add_i32 s16, s17, s16
	v_mov_b32_e32 v1, s16
	s_waitcnt vmcnt(0)
	v_add_co_u32_e32 v0, vcc, s18, v7
	v_addc_co_u32_e32 v1, vcc, v8, v1, vcc
	s_and_saveexec_b64 s[16:17], s[4:5]
	s_cbranch_execz .LBB4_332
; %bb.331:
	v_mov_b32_e32 v11, s12
	v_mov_b32_e32 v12, s13
	;; [unrolled: 1-line block ×4, first 2 shown]
	global_store_dwordx4 v[0:1], v[11:14], off offset:8
.LBB4_332:
	s_or_b64 exec, exec, s[16:17]
	s_lshl_b64 s[12:13], s[14:15], 12
	v_mov_b32_e32 v6, s13
	v_add_co_u32_e32 v11, vcc, s12, v9
	v_addc_co_u32_e32 v12, vcc, v10, v6, vcc
	s_movk_i32 s12, 0xff1f
	v_and_or_b32 v3, v3, s12, 32
	s_mov_b32 s12, 0
	v_mov_b32_e32 v6, v5
	v_readfirstlane_b32 s16, v11
	v_readfirstlane_b32 s17, v12
	v_add_co_u32_e32 v9, vcc, v11, v32
	s_mov_b32 s13, s12
	s_mov_b32 s14, s12
	s_mov_b32 s15, s12
	s_nop 0
	global_store_dwordx4 v32, v[3:6], s[16:17]
	v_addc_co_u32_e32 v10, vcc, 0, v12, vcc
	v_mov_b32_e32 v3, s12
	v_mov_b32_e32 v4, s13
	;; [unrolled: 1-line block ×4, first 2 shown]
	global_store_dwordx4 v32, v[3:6], s[16:17] offset:16
	global_store_dwordx4 v32, v[3:6], s[16:17] offset:32
	;; [unrolled: 1-line block ×3, first 2 shown]
	s_and_saveexec_b64 s[12:13], s[4:5]
	s_cbranch_execz .LBB4_340
; %bb.333:
	v_mov_b32_e32 v11, 0
	global_load_dwordx2 v[14:15], v11, s[8:9] offset:32 glc
	global_load_dwordx2 v[3:4], v11, s[8:9] offset:40
	v_mov_b32_e32 v12, s10
	v_mov_b32_e32 v13, s11
	s_waitcnt vmcnt(0)
	v_readfirstlane_b32 s14, v3
	v_readfirstlane_b32 s15, v4
	s_and_b64 s[14:15], s[14:15], s[10:11]
	s_mul_i32 s15, s15, 24
	s_mul_hi_u32 s16, s14, 24
	s_mul_i32 s14, s14, 24
	s_add_i32 s15, s16, s15
	v_mov_b32_e32 v3, s15
	v_add_co_u32_e32 v7, vcc, s14, v7
	v_addc_co_u32_e32 v8, vcc, v8, v3, vcc
	global_store_dwordx2 v[7:8], v[14:15], off
	s_waitcnt vmcnt(0)
	global_atomic_cmpswap_x2 v[5:6], v11, v[12:15], s[8:9] offset:32 glc
	s_waitcnt vmcnt(0)
	v_cmp_ne_u64_e32 vcc, v[5:6], v[14:15]
	s_and_saveexec_b64 s[14:15], vcc
	s_cbranch_execz .LBB4_336
; %bb.334:
	s_mov_b64 s[16:17], 0
.LBB4_335:                              ; =>This Inner Loop Header: Depth=1
	s_sleep 1
	global_store_dwordx2 v[7:8], v[5:6], off
	v_mov_b32_e32 v3, s10
	v_mov_b32_e32 v4, s11
	s_waitcnt vmcnt(0)
	global_atomic_cmpswap_x2 v[3:4], v11, v[3:6], s[8:9] offset:32 glc
	s_waitcnt vmcnt(0)
	v_cmp_eq_u64_e32 vcc, v[3:4], v[5:6]
	v_mov_b32_e32 v6, v4
	s_or_b64 s[16:17], vcc, s[16:17]
	v_mov_b32_e32 v5, v3
	s_andn2_b64 exec, exec, s[16:17]
	s_cbranch_execnz .LBB4_335
.LBB4_336:
	s_or_b64 exec, exec, s[14:15]
	v_mov_b32_e32 v6, 0
	global_load_dwordx2 v[3:4], v6, s[8:9] offset:16
	s_mov_b64 s[14:15], exec
	v_mbcnt_lo_u32_b32 v5, s14, 0
	v_mbcnt_hi_u32_b32 v5, s15, v5
	v_cmp_eq_u32_e32 vcc, 0, v5
	s_and_saveexec_b64 s[16:17], vcc
	s_cbranch_execz .LBB4_338
; %bb.337:
	s_bcnt1_i32_b64 s14, s[14:15]
	v_mov_b32_e32 v5, s14
	s_waitcnt vmcnt(0)
	global_atomic_add_x2 v[3:4], v[5:6], off offset:8
.LBB4_338:
	s_or_b64 exec, exec, s[16:17]
	s_waitcnt vmcnt(0)
	global_load_dwordx2 v[5:6], v[3:4], off offset:16
	s_waitcnt vmcnt(0)
	v_cmp_eq_u64_e32 vcc, 0, v[5:6]
	s_cbranch_vccnz .LBB4_340
; %bb.339:
	global_load_dword v3, v[3:4], off offset:24
	v_mov_b32_e32 v4, 0
	s_waitcnt vmcnt(0)
	v_readfirstlane_b32 s14, v3
	s_and_b32 m0, s14, 0xffffff
	global_store_dwordx2 v[5:6], v[3:4], off
	s_sendmsg sendmsg(MSG_INTERRUPT)
.LBB4_340:
	s_or_b64 exec, exec, s[12:13]
	s_branch .LBB4_344
.LBB4_341:                              ;   in Loop: Header=BB4_344 Depth=1
	s_or_b64 exec, exec, s[12:13]
	v_readfirstlane_b32 s12, v3
	s_cmp_eq_u32 s12, 0
	s_cbranch_scc1 .LBB4_343
; %bb.342:                              ;   in Loop: Header=BB4_344 Depth=1
	s_sleep 1
	s_cbranch_execnz .LBB4_344
	s_branch .LBB4_346
.LBB4_343:
	s_branch .LBB4_346
.LBB4_344:                              ; =>This Inner Loop Header: Depth=1
	v_mov_b32_e32 v3, 1
	s_and_saveexec_b64 s[12:13], s[4:5]
	s_cbranch_execz .LBB4_341
; %bb.345:                              ;   in Loop: Header=BB4_344 Depth=1
	global_load_dword v3, v[0:1], off offset:20 glc
	s_waitcnt vmcnt(0)
	buffer_wbinvl1_vol
	v_and_b32_e32 v3, 1, v3
	s_branch .LBB4_341
.LBB4_346:
	global_load_dwordx2 v[5:6], v[9:10], off
	s_and_saveexec_b64 s[12:13], s[4:5]
	s_cbranch_execz .LBB4_349
; %bb.347:
	v_mov_b32_e32 v3, 0
	global_load_dwordx2 v[0:1], v3, s[8:9] offset:40
	global_load_dwordx2 v[11:12], v3, s[8:9] offset:24 glc
	global_load_dwordx2 v[7:8], v3, s[8:9]
	s_waitcnt vmcnt(2)
	v_readfirstlane_b32 s14, v0
	v_readfirstlane_b32 s15, v1
	s_add_u32 s16, s14, 1
	s_addc_u32 s17, s15, 0
	s_add_u32 s4, s16, s10
	s_addc_u32 s5, s17, s11
	s_cmp_eq_u64 s[4:5], 0
	s_cselect_b32 s5, s17, s5
	s_cselect_b32 s4, s16, s4
	s_and_b64 s[10:11], s[4:5], s[14:15]
	s_mul_i32 s11, s11, 24
	s_mul_hi_u32 s14, s10, 24
	s_mul_i32 s10, s10, 24
	s_add_i32 s11, s14, s11
	v_mov_b32_e32 v1, s11
	s_waitcnt vmcnt(0)
	v_add_co_u32_e32 v0, vcc, s10, v7
	v_addc_co_u32_e32 v1, vcc, v8, v1, vcc
	v_mov_b32_e32 v9, s4
	global_store_dwordx2 v[0:1], v[11:12], off
	v_mov_b32_e32 v10, s5
	s_waitcnt vmcnt(0)
	global_atomic_cmpswap_x2 v[9:10], v3, v[9:12], s[8:9] offset:24 glc
	s_mov_b64 s[10:11], 0
	s_waitcnt vmcnt(0)
	v_cmp_ne_u64_e32 vcc, v[9:10], v[11:12]
	s_and_b64 exec, exec, vcc
	s_cbranch_execz .LBB4_349
.LBB4_348:                              ; =>This Inner Loop Header: Depth=1
	s_sleep 1
	global_store_dwordx2 v[0:1], v[9:10], off
	v_mov_b32_e32 v7, s4
	v_mov_b32_e32 v8, s5
	s_waitcnt vmcnt(0)
	global_atomic_cmpswap_x2 v[7:8], v3, v[7:10], s[8:9] offset:24 glc
	s_waitcnt vmcnt(0)
	v_cmp_eq_u64_e32 vcc, v[7:8], v[9:10]
	v_mov_b32_e32 v10, v8
	s_or_b64 s[10:11], vcc, s[10:11]
	v_mov_b32_e32 v9, v7
	s_andn2_b64 exec, exec, s[10:11]
	s_cbranch_execnz .LBB4_348
.LBB4_349:
	s_or_b64 exec, exec, s[12:13]
.LBB4_350:
	v_readfirstlane_b32 s4, v33
	v_mov_b32_e32 v0, 0
	v_mov_b32_e32 v1, 0
	v_cmp_eq_u32_e64 s[4:5], s4, v33
	s_and_saveexec_b64 s[10:11], s[4:5]
	s_cbranch_execz .LBB4_356
; %bb.351:
	s_waitcnt vmcnt(0)
	v_mov_b32_e32 v3, 0
	global_load_dwordx2 v[9:10], v3, s[8:9] offset:24 glc
	s_waitcnt vmcnt(0)
	buffer_wbinvl1_vol
	global_load_dwordx2 v[0:1], v3, s[8:9] offset:40
	global_load_dwordx2 v[7:8], v3, s[8:9]
	s_waitcnt vmcnt(1)
	v_and_b32_e32 v0, v0, v9
	v_and_b32_e32 v1, v1, v10
	v_mul_lo_u32 v1, v1, 24
	v_mul_hi_u32 v4, v0, 24
	v_mul_lo_u32 v0, v0, 24
	v_add_u32_e32 v1, v4, v1
	s_waitcnt vmcnt(0)
	v_add_co_u32_e32 v0, vcc, v7, v0
	v_addc_co_u32_e32 v1, vcc, v8, v1, vcc
	global_load_dwordx2 v[7:8], v[0:1], off glc
	s_waitcnt vmcnt(0)
	global_atomic_cmpswap_x2 v[0:1], v3, v[7:10], s[8:9] offset:24 glc
	s_waitcnt vmcnt(0)
	buffer_wbinvl1_vol
	v_cmp_ne_u64_e32 vcc, v[0:1], v[9:10]
	s_and_saveexec_b64 s[12:13], vcc
	s_cbranch_execz .LBB4_355
; %bb.352:
	s_mov_b64 s[14:15], 0
.LBB4_353:                              ; =>This Inner Loop Header: Depth=1
	s_sleep 1
	global_load_dwordx2 v[7:8], v3, s[8:9] offset:40
	global_load_dwordx2 v[11:12], v3, s[8:9]
	v_mov_b32_e32 v10, v1
	v_mov_b32_e32 v9, v0
	s_waitcnt vmcnt(1)
	v_and_b32_e32 v0, v7, v9
	s_waitcnt vmcnt(0)
	v_mad_u64_u32 v[0:1], s[16:17], v0, 24, v[11:12]
	v_and_b32_e32 v4, v8, v10
	v_mad_u64_u32 v[7:8], s[16:17], v4, 24, v[1:2]
	v_mov_b32_e32 v1, v7
	global_load_dwordx2 v[7:8], v[0:1], off glc
	s_waitcnt vmcnt(0)
	global_atomic_cmpswap_x2 v[0:1], v3, v[7:10], s[8:9] offset:24 glc
	s_waitcnt vmcnt(0)
	buffer_wbinvl1_vol
	v_cmp_eq_u64_e32 vcc, v[0:1], v[9:10]
	s_or_b64 s[14:15], vcc, s[14:15]
	s_andn2_b64 exec, exec, s[14:15]
	s_cbranch_execnz .LBB4_353
; %bb.354:
	s_or_b64 exec, exec, s[14:15]
.LBB4_355:
	s_or_b64 exec, exec, s[12:13]
.LBB4_356:
	s_or_b64 exec, exec, s[10:11]
	v_mov_b32_e32 v8, 0
	global_load_dwordx2 v[3:4], v8, s[8:9] offset:40
	global_load_dwordx4 v[9:12], v8, s[8:9]
	v_readfirstlane_b32 s11, v1
	v_readfirstlane_b32 s10, v0
	s_mov_b64 s[12:13], exec
	s_waitcnt vmcnt(1)
	v_readfirstlane_b32 s14, v3
	v_readfirstlane_b32 s15, v4
	s_and_b64 s[14:15], s[14:15], s[10:11]
	s_mul_i32 s16, s15, 24
	s_mul_hi_u32 s17, s14, 24
	s_mul_i32 s18, s14, 24
	s_add_i32 s16, s17, s16
	v_mov_b32_e32 v1, s16
	s_waitcnt vmcnt(0)
	v_add_co_u32_e32 v0, vcc, s18, v9
	v_addc_co_u32_e32 v1, vcc, v10, v1, vcc
	s_and_saveexec_b64 s[16:17], s[4:5]
	s_cbranch_execz .LBB4_358
; %bb.357:
	v_mov_b32_e32 v14, s13
	v_mov_b32_e32 v13, s12
	;; [unrolled: 1-line block ×4, first 2 shown]
	global_store_dwordx4 v[0:1], v[13:16], off offset:8
.LBB4_358:
	s_or_b64 exec, exec, s[16:17]
	s_lshl_b64 s[12:13], s[14:15], 12
	v_mov_b32_e32 v3, s13
	v_add_co_u32_e32 v4, vcc, s12, v11
	v_addc_co_u32_e32 v3, vcc, v12, v3, vcc
	s_movk_i32 s12, 0xff1f
	v_and_or_b32 v5, v5, s12, 32
	v_add_co_u32_e32 v11, vcc, v4, v32
	s_mov_b32 s12, 0
	v_mov_b32_e32 v7, 31
	v_readfirstlane_b32 s16, v4
	v_readfirstlane_b32 s17, v3
	v_addc_co_u32_e32 v12, vcc, 0, v3, vcc
	s_mov_b32 s13, s12
	s_mov_b32 s14, s12
	;; [unrolled: 1-line block ×3, first 2 shown]
	s_nop 0
	global_store_dwordx4 v32, v[5:8], s[16:17]
	v_mov_b32_e32 v3, s12
	v_mov_b32_e32 v4, s13
	;; [unrolled: 1-line block ×4, first 2 shown]
	global_store_dwordx4 v32, v[3:6], s[16:17] offset:16
	global_store_dwordx4 v32, v[3:6], s[16:17] offset:32
	;; [unrolled: 1-line block ×3, first 2 shown]
	s_and_saveexec_b64 s[12:13], s[4:5]
	s_cbranch_execz .LBB4_366
; %bb.359:
	v_mov_b32_e32 v13, 0
	global_load_dwordx2 v[16:17], v13, s[8:9] offset:32 glc
	global_load_dwordx2 v[3:4], v13, s[8:9] offset:40
	v_mov_b32_e32 v14, s10
	v_mov_b32_e32 v15, s11
	s_waitcnt vmcnt(0)
	v_readfirstlane_b32 s14, v3
	v_readfirstlane_b32 s15, v4
	s_and_b64 s[14:15], s[14:15], s[10:11]
	s_mul_i32 s15, s15, 24
	s_mul_hi_u32 s16, s14, 24
	s_mul_i32 s14, s14, 24
	s_add_i32 s15, s16, s15
	v_mov_b32_e32 v3, s15
	v_add_co_u32_e32 v7, vcc, s14, v9
	v_addc_co_u32_e32 v8, vcc, v10, v3, vcc
	global_store_dwordx2 v[7:8], v[16:17], off
	s_waitcnt vmcnt(0)
	global_atomic_cmpswap_x2 v[5:6], v13, v[14:17], s[8:9] offset:32 glc
	s_waitcnt vmcnt(0)
	v_cmp_ne_u64_e32 vcc, v[5:6], v[16:17]
	s_and_saveexec_b64 s[14:15], vcc
	s_cbranch_execz .LBB4_362
; %bb.360:
	s_mov_b64 s[16:17], 0
.LBB4_361:                              ; =>This Inner Loop Header: Depth=1
	s_sleep 1
	global_store_dwordx2 v[7:8], v[5:6], off
	v_mov_b32_e32 v3, s10
	v_mov_b32_e32 v4, s11
	s_waitcnt vmcnt(0)
	global_atomic_cmpswap_x2 v[3:4], v13, v[3:6], s[8:9] offset:32 glc
	s_waitcnt vmcnt(0)
	v_cmp_eq_u64_e32 vcc, v[3:4], v[5:6]
	v_mov_b32_e32 v6, v4
	s_or_b64 s[16:17], vcc, s[16:17]
	v_mov_b32_e32 v5, v3
	s_andn2_b64 exec, exec, s[16:17]
	s_cbranch_execnz .LBB4_361
.LBB4_362:
	s_or_b64 exec, exec, s[14:15]
	v_mov_b32_e32 v6, 0
	global_load_dwordx2 v[3:4], v6, s[8:9] offset:16
	s_mov_b64 s[14:15], exec
	v_mbcnt_lo_u32_b32 v5, s14, 0
	v_mbcnt_hi_u32_b32 v5, s15, v5
	v_cmp_eq_u32_e32 vcc, 0, v5
	s_and_saveexec_b64 s[16:17], vcc
	s_cbranch_execz .LBB4_364
; %bb.363:
	s_bcnt1_i32_b64 s14, s[14:15]
	v_mov_b32_e32 v5, s14
	s_waitcnt vmcnt(0)
	global_atomic_add_x2 v[3:4], v[5:6], off offset:8
.LBB4_364:
	s_or_b64 exec, exec, s[16:17]
	s_waitcnt vmcnt(0)
	global_load_dwordx2 v[5:6], v[3:4], off offset:16
	s_waitcnt vmcnt(0)
	v_cmp_eq_u64_e32 vcc, 0, v[5:6]
	s_cbranch_vccnz .LBB4_366
; %bb.365:
	global_load_dword v3, v[3:4], off offset:24
	v_mov_b32_e32 v4, 0
	s_waitcnt vmcnt(0)
	v_readfirstlane_b32 s14, v3
	s_and_b32 m0, s14, 0xffffff
	global_store_dwordx2 v[5:6], v[3:4], off
	s_sendmsg sendmsg(MSG_INTERRUPT)
.LBB4_366:
	s_or_b64 exec, exec, s[12:13]
	s_branch .LBB4_370
.LBB4_367:                              ;   in Loop: Header=BB4_370 Depth=1
	s_or_b64 exec, exec, s[12:13]
	v_readfirstlane_b32 s12, v3
	s_cmp_eq_u32 s12, 0
	s_cbranch_scc1 .LBB4_369
; %bb.368:                              ;   in Loop: Header=BB4_370 Depth=1
	s_sleep 1
	s_cbranch_execnz .LBB4_370
	s_branch .LBB4_372
.LBB4_369:
	s_branch .LBB4_372
.LBB4_370:                              ; =>This Inner Loop Header: Depth=1
	v_mov_b32_e32 v3, 1
	s_and_saveexec_b64 s[12:13], s[4:5]
	s_cbranch_execz .LBB4_367
; %bb.371:                              ;   in Loop: Header=BB4_370 Depth=1
	global_load_dword v3, v[0:1], off offset:20 glc
	s_waitcnt vmcnt(0)
	buffer_wbinvl1_vol
	v_and_b32_e32 v3, 1, v3
	s_branch .LBB4_367
.LBB4_372:
	global_load_dwordx2 v[0:1], v[11:12], off
	s_and_saveexec_b64 s[12:13], s[4:5]
	s_cbranch_execz .LBB4_375
; %bb.373:
	v_mov_b32_e32 v9, 0
	global_load_dwordx2 v[3:4], v9, s[8:9] offset:40
	global_load_dwordx2 v[12:13], v9, s[8:9] offset:24 glc
	global_load_dwordx2 v[5:6], v9, s[8:9]
	s_waitcnt vmcnt(2)
	v_readfirstlane_b32 s14, v3
	v_readfirstlane_b32 s15, v4
	s_add_u32 s16, s14, 1
	s_addc_u32 s17, s15, 0
	s_add_u32 s4, s16, s10
	s_addc_u32 s5, s17, s11
	s_cmp_eq_u64 s[4:5], 0
	s_cselect_b32 s5, s17, s5
	s_cselect_b32 s4, s16, s4
	s_and_b64 s[10:11], s[4:5], s[14:15]
	s_mul_i32 s11, s11, 24
	s_mul_hi_u32 s14, s10, 24
	s_mul_i32 s10, s10, 24
	s_add_i32 s11, s14, s11
	v_mov_b32_e32 v3, s11
	s_waitcnt vmcnt(0)
	v_add_co_u32_e32 v7, vcc, s10, v5
	v_addc_co_u32_e32 v8, vcc, v6, v3, vcc
	v_mov_b32_e32 v10, s4
	global_store_dwordx2 v[7:8], v[12:13], off
	v_mov_b32_e32 v11, s5
	s_waitcnt vmcnt(0)
	global_atomic_cmpswap_x2 v[5:6], v9, v[10:13], s[8:9] offset:24 glc
	s_mov_b64 s[10:11], 0
	s_waitcnt vmcnt(0)
	v_cmp_ne_u64_e32 vcc, v[5:6], v[12:13]
	s_and_b64 exec, exec, vcc
	s_cbranch_execz .LBB4_375
.LBB4_374:                              ; =>This Inner Loop Header: Depth=1
	s_sleep 1
	global_store_dwordx2 v[7:8], v[5:6], off
	v_mov_b32_e32 v3, s4
	v_mov_b32_e32 v4, s5
	s_waitcnt vmcnt(0)
	global_atomic_cmpswap_x2 v[3:4], v9, v[3:6], s[8:9] offset:24 glc
	s_waitcnt vmcnt(0)
	v_cmp_eq_u64_e32 vcc, v[3:4], v[5:6]
	v_mov_b32_e32 v6, v4
	s_or_b64 s[10:11], vcc, s[10:11]
	v_mov_b32_e32 v5, v3
	s_andn2_b64 exec, exec, s[10:11]
	s_cbranch_execnz .LBB4_374
.LBB4_375:
	s_or_b64 exec, exec, s[12:13]
	v_readfirstlane_b32 s4, v33
	v_mov_b32_e32 v8, 0
	v_mov_b32_e32 v9, 0
	v_cmp_eq_u32_e64 s[4:5], s4, v33
	s_and_saveexec_b64 s[10:11], s[4:5]
	s_cbranch_execz .LBB4_381
; %bb.376:
	v_mov_b32_e32 v3, 0
	global_load_dwordx2 v[6:7], v3, s[8:9] offset:24 glc
	s_waitcnt vmcnt(0)
	buffer_wbinvl1_vol
	global_load_dwordx2 v[4:5], v3, s[8:9] offset:40
	global_load_dwordx2 v[8:9], v3, s[8:9]
	s_waitcnt vmcnt(1)
	v_and_b32_e32 v4, v4, v6
	v_and_b32_e32 v5, v5, v7
	v_mul_lo_u32 v5, v5, 24
	v_mul_hi_u32 v10, v4, 24
	v_mul_lo_u32 v4, v4, 24
	v_add_u32_e32 v5, v10, v5
	s_waitcnt vmcnt(0)
	v_add_co_u32_e32 v4, vcc, v8, v4
	v_addc_co_u32_e32 v5, vcc, v9, v5, vcc
	global_load_dwordx2 v[4:5], v[4:5], off glc
	s_waitcnt vmcnt(0)
	global_atomic_cmpswap_x2 v[8:9], v3, v[4:7], s[8:9] offset:24 glc
	s_waitcnt vmcnt(0)
	buffer_wbinvl1_vol
	v_cmp_ne_u64_e32 vcc, v[8:9], v[6:7]
	s_and_saveexec_b64 s[12:13], vcc
	s_cbranch_execz .LBB4_380
; %bb.377:
	s_mov_b64 s[14:15], 0
.LBB4_378:                              ; =>This Inner Loop Header: Depth=1
	s_sleep 1
	global_load_dwordx2 v[4:5], v3, s[8:9] offset:40
	global_load_dwordx2 v[10:11], v3, s[8:9]
	v_mov_b32_e32 v6, v8
	v_mov_b32_e32 v7, v9
	s_waitcnt vmcnt(1)
	v_and_b32_e32 v4, v4, v6
	s_waitcnt vmcnt(0)
	v_mad_u64_u32 v[8:9], s[16:17], v4, 24, v[10:11]
	v_and_b32_e32 v5, v5, v7
	v_mov_b32_e32 v4, v9
	v_mad_u64_u32 v[4:5], s[16:17], v5, 24, v[4:5]
	v_mov_b32_e32 v9, v4
	global_load_dwordx2 v[4:5], v[8:9], off glc
	s_waitcnt vmcnt(0)
	global_atomic_cmpswap_x2 v[8:9], v3, v[4:7], s[8:9] offset:24 glc
	s_waitcnt vmcnt(0)
	buffer_wbinvl1_vol
	v_cmp_eq_u64_e32 vcc, v[8:9], v[6:7]
	s_or_b64 s[14:15], vcc, s[14:15]
	s_andn2_b64 exec, exec, s[14:15]
	s_cbranch_execnz .LBB4_378
; %bb.379:
	s_or_b64 exec, exec, s[14:15]
.LBB4_380:
	s_or_b64 exec, exec, s[12:13]
.LBB4_381:
	s_or_b64 exec, exec, s[10:11]
	v_mov_b32_e32 v3, 0
	global_load_dwordx2 v[10:11], v3, s[8:9] offset:40
	global_load_dwordx4 v[4:7], v3, s[8:9]
	v_readfirstlane_b32 s11, v9
	v_readfirstlane_b32 s10, v8
	s_mov_b64 s[12:13], exec
	s_waitcnt vmcnt(1)
	v_readfirstlane_b32 s14, v10
	v_readfirstlane_b32 s15, v11
	s_and_b64 s[14:15], s[14:15], s[10:11]
	s_mul_i32 s16, s15, 24
	s_mul_hi_u32 s17, s14, 24
	s_mul_i32 s18, s14, 24
	s_add_i32 s16, s17, s16
	v_mov_b32_e32 v9, s16
	s_waitcnt vmcnt(0)
	v_add_co_u32_e32 v8, vcc, s18, v4
	v_addc_co_u32_e32 v9, vcc, v5, v9, vcc
	s_and_saveexec_b64 s[16:17], s[4:5]
	s_cbranch_execz .LBB4_383
; %bb.382:
	v_mov_b32_e32 v10, s12
	v_mov_b32_e32 v11, s13
	;; [unrolled: 1-line block ×4, first 2 shown]
	global_store_dwordx4 v[8:9], v[10:13], off offset:8
.LBB4_383:
	s_or_b64 exec, exec, s[16:17]
	s_lshl_b64 s[12:13], s[14:15], 12
	v_add_co_u32_e32 v6, vcc, s12, v6
	s_movk_i32 s12, 0xff1d
	v_mov_b32_e32 v10, s13
	v_and_or_b32 v0, v0, s12, 34
	s_mov_b32 s12, 0
	v_addc_co_u32_e32 v7, vcc, v7, v10, vcc
	s_mov_b32 s13, s12
	s_mov_b32 s14, s12
	;; [unrolled: 1-line block ×3, first 2 shown]
	v_mov_b32_e32 v10, s12
	v_readfirstlane_b32 s16, v6
	v_readfirstlane_b32 s17, v7
	v_mov_b32_e32 v11, s13
	v_mov_b32_e32 v12, s14
	;; [unrolled: 1-line block ×3, first 2 shown]
	s_nop 1
	global_store_dwordx4 v32, v[0:3], s[16:17]
	global_store_dwordx4 v32, v[10:13], s[16:17] offset:16
	global_store_dwordx4 v32, v[10:13], s[16:17] offset:32
	;; [unrolled: 1-line block ×3, first 2 shown]
	s_and_saveexec_b64 s[12:13], s[4:5]
	s_cbranch_execz .LBB4_391
; %bb.384:
	v_mov_b32_e32 v7, 0
	global_load_dwordx2 v[12:13], v7, s[8:9] offset:32 glc
	global_load_dwordx2 v[0:1], v7, s[8:9] offset:40
	v_mov_b32_e32 v10, s10
	v_mov_b32_e32 v11, s11
	s_waitcnt vmcnt(0)
	v_readfirstlane_b32 s14, v0
	v_readfirstlane_b32 s15, v1
	s_and_b64 s[14:15], s[14:15], s[10:11]
	s_mul_i32 s15, s15, 24
	s_mul_hi_u32 s16, s14, 24
	s_mul_i32 s14, s14, 24
	s_add_i32 s15, s16, s15
	v_mov_b32_e32 v1, s15
	v_add_co_u32_e32 v0, vcc, s14, v4
	v_addc_co_u32_e32 v1, vcc, v5, v1, vcc
	global_store_dwordx2 v[0:1], v[12:13], off
	s_waitcnt vmcnt(0)
	global_atomic_cmpswap_x2 v[5:6], v7, v[10:13], s[8:9] offset:32 glc
	s_waitcnt vmcnt(0)
	v_cmp_ne_u64_e32 vcc, v[5:6], v[12:13]
	s_and_saveexec_b64 s[14:15], vcc
	s_cbranch_execz .LBB4_387
; %bb.385:
	s_mov_b64 s[16:17], 0
.LBB4_386:                              ; =>This Inner Loop Header: Depth=1
	s_sleep 1
	global_store_dwordx2 v[0:1], v[5:6], off
	v_mov_b32_e32 v3, s10
	v_mov_b32_e32 v4, s11
	s_waitcnt vmcnt(0)
	global_atomic_cmpswap_x2 v[3:4], v7, v[3:6], s[8:9] offset:32 glc
	s_waitcnt vmcnt(0)
	v_cmp_eq_u64_e32 vcc, v[3:4], v[5:6]
	v_mov_b32_e32 v6, v4
	s_or_b64 s[16:17], vcc, s[16:17]
	v_mov_b32_e32 v5, v3
	s_andn2_b64 exec, exec, s[16:17]
	s_cbranch_execnz .LBB4_386
.LBB4_387:
	s_or_b64 exec, exec, s[14:15]
	v_mov_b32_e32 v4, 0
	global_load_dwordx2 v[0:1], v4, s[8:9] offset:16
	s_mov_b64 s[14:15], exec
	v_mbcnt_lo_u32_b32 v3, s14, 0
	v_mbcnt_hi_u32_b32 v3, s15, v3
	v_cmp_eq_u32_e32 vcc, 0, v3
	s_and_saveexec_b64 s[16:17], vcc
	s_cbranch_execz .LBB4_389
; %bb.388:
	s_bcnt1_i32_b64 s14, s[14:15]
	v_mov_b32_e32 v3, s14
	s_waitcnt vmcnt(0)
	global_atomic_add_x2 v[0:1], v[3:4], off offset:8
.LBB4_389:
	s_or_b64 exec, exec, s[16:17]
	s_waitcnt vmcnt(0)
	global_load_dwordx2 v[3:4], v[0:1], off offset:16
	s_waitcnt vmcnt(0)
	v_cmp_eq_u64_e32 vcc, 0, v[3:4]
	s_cbranch_vccnz .LBB4_391
; %bb.390:
	global_load_dword v0, v[0:1], off offset:24
	v_mov_b32_e32 v1, 0
	s_waitcnt vmcnt(0)
	v_readfirstlane_b32 s14, v0
	s_and_b32 m0, s14, 0xffffff
	global_store_dwordx2 v[3:4], v[0:1], off
	s_sendmsg sendmsg(MSG_INTERRUPT)
.LBB4_391:
	s_or_b64 exec, exec, s[12:13]
	s_branch .LBB4_395
.LBB4_392:                              ;   in Loop: Header=BB4_395 Depth=1
	s_or_b64 exec, exec, s[12:13]
	v_readfirstlane_b32 s12, v0
	s_cmp_eq_u32 s12, 0
	s_cbranch_scc1 .LBB4_394
; %bb.393:                              ;   in Loop: Header=BB4_395 Depth=1
	s_sleep 1
	s_cbranch_execnz .LBB4_395
	s_branch .LBB4_397
.LBB4_394:
	s_branch .LBB4_397
.LBB4_395:                              ; =>This Inner Loop Header: Depth=1
	v_mov_b32_e32 v0, 1
	s_and_saveexec_b64 s[12:13], s[4:5]
	s_cbranch_execz .LBB4_392
; %bb.396:                              ;   in Loop: Header=BB4_395 Depth=1
	global_load_dword v0, v[8:9], off offset:20 glc
	s_waitcnt vmcnt(0)
	buffer_wbinvl1_vol
	v_and_b32_e32 v0, 1, v0
	s_branch .LBB4_392
.LBB4_397:
	s_and_saveexec_b64 s[12:13], s[4:5]
	s_cbranch_execz .LBB4_400
; %bb.398:
	v_mov_b32_e32 v7, 0
	global_load_dwordx2 v[0:1], v7, s[8:9] offset:40
	global_load_dwordx2 v[10:11], v7, s[8:9] offset:24 glc
	global_load_dwordx2 v[3:4], v7, s[8:9]
	s_waitcnt vmcnt(2)
	v_readfirstlane_b32 s14, v0
	v_readfirstlane_b32 s15, v1
	s_add_u32 s16, s14, 1
	s_addc_u32 s17, s15, 0
	s_add_u32 s4, s16, s10
	s_addc_u32 s5, s17, s11
	s_cmp_eq_u64 s[4:5], 0
	s_cselect_b32 s5, s17, s5
	s_cselect_b32 s4, s16, s4
	s_and_b64 s[10:11], s[4:5], s[14:15]
	s_mul_i32 s11, s11, 24
	s_mul_hi_u32 s14, s10, 24
	s_mul_i32 s10, s10, 24
	s_add_i32 s11, s14, s11
	v_mov_b32_e32 v1, s11
	s_waitcnt vmcnt(0)
	v_add_co_u32_e32 v0, vcc, s10, v3
	v_addc_co_u32_e32 v1, vcc, v4, v1, vcc
	v_mov_b32_e32 v8, s4
	global_store_dwordx2 v[0:1], v[10:11], off
	v_mov_b32_e32 v9, s5
	s_waitcnt vmcnt(0)
	global_atomic_cmpswap_x2 v[5:6], v7, v[8:11], s[8:9] offset:24 glc
	s_mov_b64 s[10:11], 0
	s_waitcnt vmcnt(0)
	v_cmp_ne_u64_e32 vcc, v[5:6], v[10:11]
	s_and_b64 exec, exec, vcc
	s_cbranch_execz .LBB4_400
.LBB4_399:                              ; =>This Inner Loop Header: Depth=1
	s_sleep 1
	global_store_dwordx2 v[0:1], v[5:6], off
	v_mov_b32_e32 v3, s4
	v_mov_b32_e32 v4, s5
	s_waitcnt vmcnt(0)
	global_atomic_cmpswap_x2 v[3:4], v7, v[3:6], s[8:9] offset:24 glc
	s_waitcnt vmcnt(0)
	v_cmp_eq_u64_e32 vcc, v[3:4], v[5:6]
	v_mov_b32_e32 v6, v4
	s_or_b64 s[10:11], vcc, s[10:11]
	v_mov_b32_e32 v5, v3
	s_andn2_b64 exec, exec, s[10:11]
	s_cbranch_execnz .LBB4_399
.LBB4_400:
	s_or_b64 exec, exec, s[12:13]
	v_lshrrev_b32_e32 v0, 3, v29
	v_and_b32_e32 v0, 0x1ffffffc, v0
	global_store_dword v0, v2, s[6:7]
.LBB4_401:
	s_endpgm
.LBB4_402:
	s_cbranch_execz .LBB4_205
	s_branch .LBB4_206
	.section	.rodata,"a",@progbits
	.p2align	6, 0x0
	.amdhsa_kernel _ZL32kernel_cg_group_partition_staticILj32EEvPi19TiledGroupShflTests
		.amdhsa_group_segment_fixed_size 0
		.amdhsa_private_segment_fixed_size 12
		.amdhsa_kernarg_size 272
		.amdhsa_user_sgpr_count 8
		.amdhsa_user_sgpr_private_segment_buffer 1
		.amdhsa_user_sgpr_dispatch_ptr 0
		.amdhsa_user_sgpr_queue_ptr 0
		.amdhsa_user_sgpr_kernarg_segment_ptr 1
		.amdhsa_user_sgpr_dispatch_id 0
		.amdhsa_user_sgpr_flat_scratch_init 1
		.amdhsa_user_sgpr_private_segment_size 0
		.amdhsa_uses_dynamic_stack 0
		.amdhsa_system_sgpr_private_segment_wavefront_offset 1
		.amdhsa_system_sgpr_workgroup_id_x 1
		.amdhsa_system_sgpr_workgroup_id_y 0
		.amdhsa_system_sgpr_workgroup_id_z 0
		.amdhsa_system_sgpr_workgroup_info 0
		.amdhsa_system_vgpr_workitem_id 2
		.amdhsa_next_free_vgpr 35
		.amdhsa_next_free_sgpr 32
		.amdhsa_reserve_vcc 1
		.amdhsa_reserve_flat_scratch 1
		.amdhsa_float_round_mode_32 0
		.amdhsa_float_round_mode_16_64 0
		.amdhsa_float_denorm_mode_32 3
		.amdhsa_float_denorm_mode_16_64 3
		.amdhsa_dx10_clamp 1
		.amdhsa_ieee_mode 1
		.amdhsa_fp16_overflow 0
		.amdhsa_exception_fp_ieee_invalid_op 0
		.amdhsa_exception_fp_denorm_src 0
		.amdhsa_exception_fp_ieee_div_zero 0
		.amdhsa_exception_fp_ieee_overflow 0
		.amdhsa_exception_fp_ieee_underflow 0
		.amdhsa_exception_fp_ieee_inexact 0
		.amdhsa_exception_int_div_zero 0
	.end_amdhsa_kernel
	.section	.text._ZL32kernel_cg_group_partition_staticILj32EEvPi19TiledGroupShflTests,"axG",@progbits,_ZL32kernel_cg_group_partition_staticILj32EEvPi19TiledGroupShflTests,comdat
.Lfunc_end4:
	.size	_ZL32kernel_cg_group_partition_staticILj32EEvPi19TiledGroupShflTests, .Lfunc_end4-_ZL32kernel_cg_group_partition_staticILj32EEvPi19TiledGroupShflTests
                                        ; -- End function
	.set _ZL32kernel_cg_group_partition_staticILj32EEvPi19TiledGroupShflTests.num_vgpr, 35
	.set _ZL32kernel_cg_group_partition_staticILj32EEvPi19TiledGroupShflTests.num_agpr, 0
	.set _ZL32kernel_cg_group_partition_staticILj32EEvPi19TiledGroupShflTests.numbered_sgpr, 32
	.set _ZL32kernel_cg_group_partition_staticILj32EEvPi19TiledGroupShflTests.num_named_barrier, 0
	.set _ZL32kernel_cg_group_partition_staticILj32EEvPi19TiledGroupShflTests.private_seg_size, 12
	.set _ZL32kernel_cg_group_partition_staticILj32EEvPi19TiledGroupShflTests.uses_vcc, 1
	.set _ZL32kernel_cg_group_partition_staticILj32EEvPi19TiledGroupShflTests.uses_flat_scratch, 1
	.set _ZL32kernel_cg_group_partition_staticILj32EEvPi19TiledGroupShflTests.has_dyn_sized_stack, 0
	.set _ZL32kernel_cg_group_partition_staticILj32EEvPi19TiledGroupShflTests.has_recursion, 0
	.set _ZL32kernel_cg_group_partition_staticILj32EEvPi19TiledGroupShflTests.has_indirect_call, 0
	.section	.AMDGPU.csdata,"",@progbits
; Kernel info:
; codeLenInByte = 15348
; TotalNumSgprs: 38
; NumVgprs: 35
; ScratchSize: 12
; MemoryBound: 0
; FloatMode: 240
; IeeeMode: 1
; LDSByteSize: 0 bytes/workgroup (compile time only)
; SGPRBlocks: 4
; VGPRBlocks: 8
; NumSGPRsForWavesPerEU: 38
; NumVGPRsForWavesPerEU: 35
; Occupancy: 7
; WaveLimiterHint : 1
; COMPUTE_PGM_RSRC2:SCRATCH_EN: 1
; COMPUTE_PGM_RSRC2:USER_SGPR: 8
; COMPUTE_PGM_RSRC2:TRAP_HANDLER: 0
; COMPUTE_PGM_RSRC2:TGID_X_EN: 1
; COMPUTE_PGM_RSRC2:TGID_Y_EN: 0
; COMPUTE_PGM_RSRC2:TGID_Z_EN: 0
; COMPUTE_PGM_RSRC2:TIDIG_COMP_CNT: 2
	.section	.AMDGPU.gpr_maximums,"",@progbits
	.set amdgpu.max_num_vgpr, 0
	.set amdgpu.max_num_agpr, 0
	.set amdgpu.max_num_sgpr, 0
	.section	.AMDGPU.csdata,"",@progbits
	.type	.str,@object                    ; @.str
	.section	.rodata.str1.1,"aMS",@progbits,1
.str:
	.asciz	" Creating %d groups, of tile size %d threads:\n\n"
	.size	.str, 48

	.type	.str.1,@object                  ; @.str.1
.str.1:
	.asciz	"   Sum of all ranks 0..%d in this tiled_part group is %d\n"
	.size	.str.1, 58

	.type	__hip_cuid_b2a2c9c5b330933c,@object ; @__hip_cuid_b2a2c9c5b330933c
	.section	.bss,"aw",@nobits
	.globl	__hip_cuid_b2a2c9c5b330933c
__hip_cuid_b2a2c9c5b330933c:
	.byte	0                               ; 0x0
	.size	__hip_cuid_b2a2c9c5b330933c, 1

	.ident	"AMD clang version 22.0.0git (https://github.com/RadeonOpenCompute/llvm-project roc-7.2.4 26084 f58b06dce1f9c15707c5f808fd002e18c2accf7e)"
	.section	".note.GNU-stack","",@progbits
	.addrsig
	.addrsig_sym __hip_cuid_b2a2c9c5b330933c
	.amdgpu_metadata
---
amdhsa.kernels:
  - .args:
      - .address_space:  global
        .offset:         0
        .size:           8
        .value_kind:     global_buffer
      - .offset:         8
        .size:           4
        .value_kind:     by_value
      - .offset:         16
        .size:           4
        .value_kind:     hidden_block_count_x
      - .offset:         20
        .size:           4
        .value_kind:     hidden_block_count_y
      - .offset:         24
        .size:           4
        .value_kind:     hidden_block_count_z
      - .offset:         28
        .size:           2
        .value_kind:     hidden_group_size_x
      - .offset:         30
        .size:           2
        .value_kind:     hidden_group_size_y
      - .offset:         32
        .size:           2
        .value_kind:     hidden_group_size_z
      - .offset:         34
        .size:           2
        .value_kind:     hidden_remainder_x
      - .offset:         36
        .size:           2
        .value_kind:     hidden_remainder_y
      - .offset:         38
        .size:           2
        .value_kind:     hidden_remainder_z
      - .offset:         56
        .size:           8
        .value_kind:     hidden_global_offset_x
      - .offset:         64
        .size:           8
        .value_kind:     hidden_global_offset_y
      - .offset:         72
        .size:           8
        .value_kind:     hidden_global_offset_z
      - .offset:         80
        .size:           2
        .value_kind:     hidden_grid_dims
      - .offset:         96
        .size:           8
        .value_kind:     hidden_hostcall_buffer
    .group_segment_fixed_size: 0
    .kernarg_segment_align: 8
    .kernarg_segment_size: 272
    .language:       OpenCL C
    .language_version:
      - 2
      - 0
    .max_flat_workgroup_size: 1024
    .name:           _ZL32kernel_cg_group_partition_staticILj2EEvPi19TiledGroupShflTests
    .private_segment_fixed_size: 12
    .sgpr_count:     38
    .sgpr_spill_count: 0
    .symbol:         _ZL32kernel_cg_group_partition_staticILj2EEvPi19TiledGroupShflTests.kd
    .uniform_work_group_size: 1
    .uses_dynamic_stack: false
    .vgpr_count:     35
    .vgpr_spill_count: 0
    .wavefront_size: 64
  - .args:
      - .address_space:  global
        .offset:         0
        .size:           8
        .value_kind:     global_buffer
      - .offset:         8
        .size:           4
        .value_kind:     by_value
      - .offset:         16
        .size:           4
        .value_kind:     hidden_block_count_x
      - .offset:         20
        .size:           4
        .value_kind:     hidden_block_count_y
      - .offset:         24
        .size:           4
        .value_kind:     hidden_block_count_z
      - .offset:         28
        .size:           2
        .value_kind:     hidden_group_size_x
      - .offset:         30
        .size:           2
        .value_kind:     hidden_group_size_y
      - .offset:         32
        .size:           2
        .value_kind:     hidden_group_size_z
      - .offset:         34
        .size:           2
        .value_kind:     hidden_remainder_x
      - .offset:         36
        .size:           2
        .value_kind:     hidden_remainder_y
      - .offset:         38
        .size:           2
        .value_kind:     hidden_remainder_z
      - .offset:         56
        .size:           8
        .value_kind:     hidden_global_offset_x
      - .offset:         64
        .size:           8
        .value_kind:     hidden_global_offset_y
      - .offset:         72
        .size:           8
        .value_kind:     hidden_global_offset_z
      - .offset:         80
        .size:           2
        .value_kind:     hidden_grid_dims
      - .offset:         96
        .size:           8
        .value_kind:     hidden_hostcall_buffer
    .group_segment_fixed_size: 0
    .kernarg_segment_align: 8
    .kernarg_segment_size: 272
    .language:       OpenCL C
    .language_version:
      - 2
      - 0
    .max_flat_workgroup_size: 1024
    .name:           _ZL32kernel_cg_group_partition_staticILj4EEvPi19TiledGroupShflTests
    .private_segment_fixed_size: 12
    .sgpr_count:     38
    .sgpr_spill_count: 0
    .symbol:         _ZL32kernel_cg_group_partition_staticILj4EEvPi19TiledGroupShflTests.kd
    .uniform_work_group_size: 1
    .uses_dynamic_stack: false
    .vgpr_count:     35
    .vgpr_spill_count: 0
    .wavefront_size: 64
  - .args:
      - .address_space:  global
        .offset:         0
        .size:           8
        .value_kind:     global_buffer
      - .offset:         8
        .size:           4
        .value_kind:     by_value
      - .offset:         16
        .size:           4
        .value_kind:     hidden_block_count_x
      - .offset:         20
        .size:           4
        .value_kind:     hidden_block_count_y
      - .offset:         24
        .size:           4
        .value_kind:     hidden_block_count_z
      - .offset:         28
        .size:           2
        .value_kind:     hidden_group_size_x
      - .offset:         30
        .size:           2
        .value_kind:     hidden_group_size_y
      - .offset:         32
        .size:           2
        .value_kind:     hidden_group_size_z
      - .offset:         34
        .size:           2
        .value_kind:     hidden_remainder_x
      - .offset:         36
        .size:           2
        .value_kind:     hidden_remainder_y
      - .offset:         38
        .size:           2
        .value_kind:     hidden_remainder_z
      - .offset:         56
        .size:           8
        .value_kind:     hidden_global_offset_x
      - .offset:         64
        .size:           8
        .value_kind:     hidden_global_offset_y
      - .offset:         72
        .size:           8
        .value_kind:     hidden_global_offset_z
      - .offset:         80
        .size:           2
        .value_kind:     hidden_grid_dims
      - .offset:         96
        .size:           8
        .value_kind:     hidden_hostcall_buffer
    .group_segment_fixed_size: 0
    .kernarg_segment_align: 8
    .kernarg_segment_size: 272
    .language:       OpenCL C
    .language_version:
      - 2
      - 0
    .max_flat_workgroup_size: 1024
    .name:           _ZL32kernel_cg_group_partition_staticILj8EEvPi19TiledGroupShflTests
    .private_segment_fixed_size: 12
    .sgpr_count:     38
    .sgpr_spill_count: 0
    .symbol:         _ZL32kernel_cg_group_partition_staticILj8EEvPi19TiledGroupShflTests.kd
    .uniform_work_group_size: 1
    .uses_dynamic_stack: false
    .vgpr_count:     35
    .vgpr_spill_count: 0
    .wavefront_size: 64
  - .args:
      - .address_space:  global
        .offset:         0
        .size:           8
        .value_kind:     global_buffer
      - .offset:         8
        .size:           4
        .value_kind:     by_value
      - .offset:         16
        .size:           4
        .value_kind:     hidden_block_count_x
      - .offset:         20
        .size:           4
        .value_kind:     hidden_block_count_y
      - .offset:         24
        .size:           4
        .value_kind:     hidden_block_count_z
      - .offset:         28
        .size:           2
        .value_kind:     hidden_group_size_x
      - .offset:         30
        .size:           2
        .value_kind:     hidden_group_size_y
      - .offset:         32
        .size:           2
        .value_kind:     hidden_group_size_z
      - .offset:         34
        .size:           2
        .value_kind:     hidden_remainder_x
      - .offset:         36
        .size:           2
        .value_kind:     hidden_remainder_y
      - .offset:         38
        .size:           2
        .value_kind:     hidden_remainder_z
      - .offset:         56
        .size:           8
        .value_kind:     hidden_global_offset_x
      - .offset:         64
        .size:           8
        .value_kind:     hidden_global_offset_y
      - .offset:         72
        .size:           8
        .value_kind:     hidden_global_offset_z
      - .offset:         80
        .size:           2
        .value_kind:     hidden_grid_dims
      - .offset:         96
        .size:           8
        .value_kind:     hidden_hostcall_buffer
    .group_segment_fixed_size: 0
    .kernarg_segment_align: 8
    .kernarg_segment_size: 272
    .language:       OpenCL C
    .language_version:
      - 2
      - 0
    .max_flat_workgroup_size: 1024
    .name:           _ZL32kernel_cg_group_partition_staticILj16EEvPi19TiledGroupShflTests
    .private_segment_fixed_size: 12
    .sgpr_count:     38
    .sgpr_spill_count: 0
    .symbol:         _ZL32kernel_cg_group_partition_staticILj16EEvPi19TiledGroupShflTests.kd
    .uniform_work_group_size: 1
    .uses_dynamic_stack: false
    .vgpr_count:     35
    .vgpr_spill_count: 0
    .wavefront_size: 64
  - .args:
      - .address_space:  global
        .offset:         0
        .size:           8
        .value_kind:     global_buffer
      - .offset:         8
        .size:           4
        .value_kind:     by_value
      - .offset:         16
        .size:           4
        .value_kind:     hidden_block_count_x
      - .offset:         20
        .size:           4
        .value_kind:     hidden_block_count_y
      - .offset:         24
        .size:           4
        .value_kind:     hidden_block_count_z
      - .offset:         28
        .size:           2
        .value_kind:     hidden_group_size_x
      - .offset:         30
        .size:           2
        .value_kind:     hidden_group_size_y
      - .offset:         32
        .size:           2
        .value_kind:     hidden_group_size_z
      - .offset:         34
        .size:           2
        .value_kind:     hidden_remainder_x
      - .offset:         36
        .size:           2
        .value_kind:     hidden_remainder_y
      - .offset:         38
        .size:           2
        .value_kind:     hidden_remainder_z
      - .offset:         56
        .size:           8
        .value_kind:     hidden_global_offset_x
      - .offset:         64
        .size:           8
        .value_kind:     hidden_global_offset_y
      - .offset:         72
        .size:           8
        .value_kind:     hidden_global_offset_z
      - .offset:         80
        .size:           2
        .value_kind:     hidden_grid_dims
      - .offset:         96
        .size:           8
        .value_kind:     hidden_hostcall_buffer
    .group_segment_fixed_size: 0
    .kernarg_segment_align: 8
    .kernarg_segment_size: 272
    .language:       OpenCL C
    .language_version:
      - 2
      - 0
    .max_flat_workgroup_size: 1024
    .name:           _ZL32kernel_cg_group_partition_staticILj32EEvPi19TiledGroupShflTests
    .private_segment_fixed_size: 12
    .sgpr_count:     38
    .sgpr_spill_count: 0
    .symbol:         _ZL32kernel_cg_group_partition_staticILj32EEvPi19TiledGroupShflTests.kd
    .uniform_work_group_size: 1
    .uses_dynamic_stack: false
    .vgpr_count:     35
    .vgpr_spill_count: 0
    .wavefront_size: 64
amdhsa.target:   amdgcn-amd-amdhsa--gfx906
amdhsa.version:
  - 1
  - 2
...

	.end_amdgpu_metadata
